;; amdgpu-corpus repo=ROCm/rocFFT kind=compiled arch=gfx906 opt=O3
	.text
	.amdgcn_target "amdgcn-amd-amdhsa--gfx906"
	.amdhsa_code_object_version 6
	.protected	fft_rtc_back_len1400_factors_2_2_2_5_7_5_wgs_56_tpt_56_halfLds_dp_ip_CI_sbrr_dirReg ; -- Begin function fft_rtc_back_len1400_factors_2_2_2_5_7_5_wgs_56_tpt_56_halfLds_dp_ip_CI_sbrr_dirReg
	.globl	fft_rtc_back_len1400_factors_2_2_2_5_7_5_wgs_56_tpt_56_halfLds_dp_ip_CI_sbrr_dirReg
	.p2align	8
	.type	fft_rtc_back_len1400_factors_2_2_2_5_7_5_wgs_56_tpt_56_halfLds_dp_ip_CI_sbrr_dirReg,@function
fft_rtc_back_len1400_factors_2_2_2_5_7_5_wgs_56_tpt_56_halfLds_dp_ip_CI_sbrr_dirReg: ; @fft_rtc_back_len1400_factors_2_2_2_5_7_5_wgs_56_tpt_56_halfLds_dp_ip_CI_sbrr_dirReg
; %bb.0:
	s_load_dwordx2 s[2:3], s[4:5], 0x18
	s_load_dwordx4 s[8:11], s[4:5], 0x0
	s_load_dwordx2 s[14:15], s[4:5], 0x50
	v_mul_u32_u24_e32 v1, 0x493, v0
	v_add_u32_sdwa v5, s6, v1 dst_sel:DWORD dst_unused:UNUSED_PAD src0_sel:DWORD src1_sel:WORD_1
	s_waitcnt lgkmcnt(0)
	s_load_dwordx2 s[12:13], s[2:3], 0x0
	v_cmp_lt_u64_e64 s[0:1], s[10:11], 2
	v_mov_b32_e32 v3, 0
	v_mov_b32_e32 v1, 0
	;; [unrolled: 1-line block ×3, first 2 shown]
	s_and_b64 vcc, exec, s[0:1]
	v_mov_b32_e32 v2, 0
	s_cbranch_vccnz .LBB0_8
; %bb.1:
	s_load_dwordx2 s[0:1], s[4:5], 0x10
	s_add_u32 s6, s2, 8
	s_addc_u32 s7, s3, 0
	v_mov_b32_e32 v1, 0
	v_mov_b32_e32 v2, 0
	s_waitcnt lgkmcnt(0)
	s_add_u32 s16, s0, 8
	s_addc_u32 s17, s1, 0
	s_mov_b64 s[18:19], 1
.LBB0_2:                                ; =>This Inner Loop Header: Depth=1
	s_load_dwordx2 s[20:21], s[16:17], 0x0
                                        ; implicit-def: $vgpr7_vgpr8
	s_waitcnt lgkmcnt(0)
	v_or_b32_e32 v4, s21, v6
	v_cmp_ne_u64_e32 vcc, 0, v[3:4]
	s_and_saveexec_b64 s[0:1], vcc
	s_xor_b64 s[22:23], exec, s[0:1]
	s_cbranch_execz .LBB0_4
; %bb.3:                                ;   in Loop: Header=BB0_2 Depth=1
	v_cvt_f32_u32_e32 v4, s20
	v_cvt_f32_u32_e32 v7, s21
	s_sub_u32 s0, 0, s20
	s_subb_u32 s1, 0, s21
	v_mac_f32_e32 v4, 0x4f800000, v7
	v_rcp_f32_e32 v4, v4
	v_mul_f32_e32 v4, 0x5f7ffffc, v4
	v_mul_f32_e32 v7, 0x2f800000, v4
	v_trunc_f32_e32 v7, v7
	v_mac_f32_e32 v4, 0xcf800000, v7
	v_cvt_u32_f32_e32 v7, v7
	v_cvt_u32_f32_e32 v4, v4
	v_mul_lo_u32 v8, s0, v7
	v_mul_hi_u32 v9, s0, v4
	v_mul_lo_u32 v11, s1, v4
	v_mul_lo_u32 v10, s0, v4
	v_add_u32_e32 v8, v9, v8
	v_add_u32_e32 v8, v8, v11
	v_mul_hi_u32 v9, v4, v10
	v_mul_lo_u32 v11, v4, v8
	v_mul_hi_u32 v13, v4, v8
	v_mul_hi_u32 v12, v7, v10
	v_mul_lo_u32 v10, v7, v10
	v_mul_hi_u32 v14, v7, v8
	v_add_co_u32_e32 v9, vcc, v9, v11
	v_addc_co_u32_e32 v11, vcc, 0, v13, vcc
	v_mul_lo_u32 v8, v7, v8
	v_add_co_u32_e32 v9, vcc, v9, v10
	v_addc_co_u32_e32 v9, vcc, v11, v12, vcc
	v_addc_co_u32_e32 v10, vcc, 0, v14, vcc
	v_add_co_u32_e32 v8, vcc, v9, v8
	v_addc_co_u32_e32 v9, vcc, 0, v10, vcc
	v_add_co_u32_e32 v4, vcc, v4, v8
	v_addc_co_u32_e32 v7, vcc, v7, v9, vcc
	v_mul_lo_u32 v8, s0, v7
	v_mul_hi_u32 v9, s0, v4
	v_mul_lo_u32 v10, s1, v4
	v_mul_lo_u32 v11, s0, v4
	v_add_u32_e32 v8, v9, v8
	v_add_u32_e32 v8, v8, v10
	v_mul_lo_u32 v12, v4, v8
	v_mul_hi_u32 v13, v4, v11
	v_mul_hi_u32 v14, v4, v8
	;; [unrolled: 1-line block ×3, first 2 shown]
	v_mul_lo_u32 v11, v7, v11
	v_mul_hi_u32 v9, v7, v8
	v_add_co_u32_e32 v12, vcc, v13, v12
	v_addc_co_u32_e32 v13, vcc, 0, v14, vcc
	v_mul_lo_u32 v8, v7, v8
	v_add_co_u32_e32 v11, vcc, v12, v11
	v_addc_co_u32_e32 v10, vcc, v13, v10, vcc
	v_addc_co_u32_e32 v9, vcc, 0, v9, vcc
	v_add_co_u32_e32 v8, vcc, v10, v8
	v_addc_co_u32_e32 v9, vcc, 0, v9, vcc
	v_add_co_u32_e32 v4, vcc, v4, v8
	v_addc_co_u32_e32 v9, vcc, v7, v9, vcc
	v_mad_u64_u32 v[7:8], s[0:1], v5, v9, 0
	v_mul_hi_u32 v10, v5, v4
	v_add_co_u32_e32 v11, vcc, v10, v7
	v_addc_co_u32_e32 v12, vcc, 0, v8, vcc
	v_mad_u64_u32 v[7:8], s[0:1], v6, v4, 0
	v_mad_u64_u32 v[9:10], s[0:1], v6, v9, 0
	v_add_co_u32_e32 v4, vcc, v11, v7
	v_addc_co_u32_e32 v4, vcc, v12, v8, vcc
	v_addc_co_u32_e32 v7, vcc, 0, v10, vcc
	v_add_co_u32_e32 v4, vcc, v4, v9
	v_addc_co_u32_e32 v9, vcc, 0, v7, vcc
	v_mul_lo_u32 v10, s21, v4
	v_mul_lo_u32 v11, s20, v9
	v_mad_u64_u32 v[7:8], s[0:1], s20, v4, 0
	v_add3_u32 v8, v8, v11, v10
	v_sub_u32_e32 v10, v6, v8
	v_mov_b32_e32 v11, s21
	v_sub_co_u32_e32 v7, vcc, v5, v7
	v_subb_co_u32_e64 v10, s[0:1], v10, v11, vcc
	v_subrev_co_u32_e64 v11, s[0:1], s20, v7
	v_subbrev_co_u32_e64 v10, s[0:1], 0, v10, s[0:1]
	v_cmp_le_u32_e64 s[0:1], s21, v10
	v_cndmask_b32_e64 v12, 0, -1, s[0:1]
	v_cmp_le_u32_e64 s[0:1], s20, v11
	v_cndmask_b32_e64 v11, 0, -1, s[0:1]
	v_cmp_eq_u32_e64 s[0:1], s21, v10
	v_cndmask_b32_e64 v10, v12, v11, s[0:1]
	v_add_co_u32_e64 v11, s[0:1], 2, v4
	v_addc_co_u32_e64 v12, s[0:1], 0, v9, s[0:1]
	v_add_co_u32_e64 v13, s[0:1], 1, v4
	v_addc_co_u32_e64 v14, s[0:1], 0, v9, s[0:1]
	v_subb_co_u32_e32 v8, vcc, v6, v8, vcc
	v_cmp_ne_u32_e64 s[0:1], 0, v10
	v_cmp_le_u32_e32 vcc, s21, v8
	v_cndmask_b32_e64 v10, v14, v12, s[0:1]
	v_cndmask_b32_e64 v12, 0, -1, vcc
	v_cmp_le_u32_e32 vcc, s20, v7
	v_cndmask_b32_e64 v7, 0, -1, vcc
	v_cmp_eq_u32_e32 vcc, s21, v8
	v_cndmask_b32_e32 v7, v12, v7, vcc
	v_cmp_ne_u32_e32 vcc, 0, v7
	v_cndmask_b32_e64 v7, v13, v11, s[0:1]
	v_cndmask_b32_e32 v8, v9, v10, vcc
	v_cndmask_b32_e32 v7, v4, v7, vcc
.LBB0_4:                                ;   in Loop: Header=BB0_2 Depth=1
	s_andn2_saveexec_b64 s[0:1], s[22:23]
	s_cbranch_execz .LBB0_6
; %bb.5:                                ;   in Loop: Header=BB0_2 Depth=1
	v_cvt_f32_u32_e32 v4, s20
	s_sub_i32 s22, 0, s20
	v_rcp_iflag_f32_e32 v4, v4
	v_mul_f32_e32 v4, 0x4f7ffffe, v4
	v_cvt_u32_f32_e32 v4, v4
	v_mul_lo_u32 v7, s22, v4
	v_mul_hi_u32 v7, v4, v7
	v_add_u32_e32 v4, v4, v7
	v_mul_hi_u32 v4, v5, v4
	v_mul_lo_u32 v7, v4, s20
	v_add_u32_e32 v8, 1, v4
	v_sub_u32_e32 v7, v5, v7
	v_subrev_u32_e32 v9, s20, v7
	v_cmp_le_u32_e32 vcc, s20, v7
	v_cndmask_b32_e32 v7, v7, v9, vcc
	v_cndmask_b32_e32 v4, v4, v8, vcc
	v_add_u32_e32 v8, 1, v4
	v_cmp_le_u32_e32 vcc, s20, v7
	v_cndmask_b32_e32 v7, v4, v8, vcc
	v_mov_b32_e32 v8, v3
.LBB0_6:                                ;   in Loop: Header=BB0_2 Depth=1
	s_or_b64 exec, exec, s[0:1]
	v_mul_lo_u32 v4, v8, s20
	v_mul_lo_u32 v11, v7, s21
	v_mad_u64_u32 v[9:10], s[0:1], v7, s20, 0
	s_load_dwordx2 s[0:1], s[6:7], 0x0
	s_add_u32 s18, s18, 1
	v_add3_u32 v4, v10, v11, v4
	v_sub_co_u32_e32 v5, vcc, v5, v9
	v_subb_co_u32_e32 v4, vcc, v6, v4, vcc
	s_waitcnt lgkmcnt(0)
	v_mul_lo_u32 v4, s0, v4
	v_mul_lo_u32 v6, s1, v5
	v_mad_u64_u32 v[1:2], s[0:1], s0, v5, v[1:2]
	s_addc_u32 s19, s19, 0
	s_add_u32 s6, s6, 8
	v_add3_u32 v2, v6, v2, v4
	v_mov_b32_e32 v4, s10
	v_mov_b32_e32 v5, s11
	s_addc_u32 s7, s7, 0
	v_cmp_ge_u64_e32 vcc, s[18:19], v[4:5]
	s_add_u32 s16, s16, 8
	s_addc_u32 s17, s17, 0
	s_cbranch_vccnz .LBB0_9
; %bb.7:                                ;   in Loop: Header=BB0_2 Depth=1
	v_mov_b32_e32 v5, v7
	v_mov_b32_e32 v6, v8
	s_branch .LBB0_2
.LBB0_8:
	v_mov_b32_e32 v8, v6
	v_mov_b32_e32 v7, v5
.LBB0_9:
	s_lshl_b64 s[0:1], s[10:11], 3
	s_add_u32 s0, s2, s0
	s_addc_u32 s1, s3, s1
	s_load_dwordx2 s[2:3], s[0:1], 0x0
	s_load_dwordx2 s[6:7], s[4:5], 0x20
                                        ; implicit-def: $vgpr154
                                        ; implicit-def: $vgpr152
                                        ; implicit-def: $vgpr155
                                        ; implicit-def: $vgpr156
                                        ; implicit-def: $vgpr134
                                        ; implicit-def: $vgpr135
                                        ; implicit-def: $vgpr136
                                        ; implicit-def: $vgpr138
                                        ; implicit-def: $vgpr139
                                        ; implicit-def: $vgpr140
                                        ; implicit-def: $vgpr141
	s_waitcnt lgkmcnt(0)
	v_mad_u64_u32 v[1:2], s[0:1], s2, v7, v[1:2]
	s_mov_b32 s0, 0x4924925
	v_mul_lo_u32 v3, s2, v8
	v_mul_lo_u32 v4, s3, v7
	v_mul_hi_u32 v5, v0, s0
	v_cmp_gt_u64_e32 vcc, s[6:7], v[7:8]
	v_cmp_le_u64_e64 s[0:1], s[6:7], v[7:8]
	v_add3_u32 v2, v4, v2, v3
	v_mul_u32_u24_e32 v3, 56, v5
	v_sub_u32_e32 v150, v0, v3
	v_add_u32_e32 v151, 56, v150
	s_and_saveexec_b64 s[2:3], s[0:1]
	s_xor_b64 s[0:1], exec, s[2:3]
; %bb.10:
	v_add_u32_e32 v154, 56, v150
	v_add_u32_e32 v152, 0x70, v150
	;; [unrolled: 1-line block ×7, first 2 shown]
	v_or_b32_e32 v138, 0x1c0, v150
	v_add_u32_e32 v139, 0x1f8, v150
	v_add_u32_e32 v140, 0x230, v150
	;; [unrolled: 1-line block ×3, first 2 shown]
; %bb.11:
	s_or_saveexec_b64 s[2:3], s[0:1]
	v_lshlrev_b64 v[132:133], 4, v[1:2]
                                        ; implicit-def: $vgpr102_vgpr103
                                        ; implicit-def: $vgpr90_vgpr91
                                        ; implicit-def: $vgpr46_vgpr47
                                        ; implicit-def: $vgpr38_vgpr39
                                        ; implicit-def: $vgpr54_vgpr55
                                        ; implicit-def: $vgpr42_vgpr43
                                        ; implicit-def: $vgpr66_vgpr67
                                        ; implicit-def: $vgpr18_vgpr19
                                        ; implicit-def: $vgpr50_vgpr51
                                        ; implicit-def: $vgpr22_vgpr23
                                        ; implicit-def: $vgpr62_vgpr63
                                        ; implicit-def: $vgpr26_vgpr27
                                        ; implicit-def: $vgpr70_vgpr71
                                        ; implicit-def: $vgpr30_vgpr31
                                        ; implicit-def: $vgpr78_vgpr79
                                        ; implicit-def: $vgpr34_vgpr35
                                        ; implicit-def: $vgpr98_vgpr99
                                        ; implicit-def: $vgpr82_vgpr83
                                        ; implicit-def: $vgpr94_vgpr95
                                        ; implicit-def: $vgpr74_vgpr75
                                        ; implicit-def: $vgpr86_vgpr87
                                        ; implicit-def: $vgpr58_vgpr59
                                        ; implicit-def: $vgpr14_vgpr15
                                        ; implicit-def: $vgpr10_vgpr11
                                        ; implicit-def: $vgpr6_vgpr7
                                        ; implicit-def: $vgpr2_vgpr3
	s_xor_b64 exec, exec, s[2:3]
	s_cbranch_execz .LBB0_15
; %bb.12:
	v_mad_u64_u32 v[0:1], s[0:1], s12, v150, 0
	v_add_u32_e32 v5, 0x2bc, v150
	v_mov_b32_e32 v4, s15
	v_mad_u64_u32 v[1:2], s[0:1], s13, v150, v[1:2]
	v_mad_u64_u32 v[2:3], s[0:1], s12, v5, 0
	v_add_co_u32_e64 v90, s[0:1], s14, v132
	v_lshlrev_b64 v[0:1], 4, v[0:1]
	v_addc_co_u32_e64 v91, s[0:1], v4, v133, s[0:1]
	v_mad_u64_u32 v[3:4], s[0:1], s13, v5, v[3:4]
	v_add_co_u32_e64 v8, s[0:1], v90, v0
	v_addc_co_u32_e64 v9, s[0:1], v91, v1, s[0:1]
	v_mad_u64_u32 v[10:11], s[0:1], s12, v151, 0
	v_lshlrev_b64 v[0:1], 4, v[2:3]
	v_add_u32_e32 v17, 0x2f4, v150
	v_add_co_u32_e64 v12, s[0:1], v90, v0
	v_mov_b32_e32 v0, v11
	v_addc_co_u32_e64 v13, s[0:1], v91, v1, s[0:1]
	v_mad_u64_u32 v[14:15], s[0:1], s13, v151, v[0:1]
	v_mad_u64_u32 v[15:16], s[0:1], s12, v17, 0
	v_mov_b32_e32 v11, v14
	global_load_dwordx4 v[0:3], v[8:9], off
	global_load_dwordx4 v[4:7], v[12:13], off
	v_lshlrev_b64 v[8:9], 4, v[10:11]
	v_mov_b32_e32 v10, v16
	v_mad_u64_u32 v[10:11], s[0:1], s13, v17, v[10:11]
	v_add_co_u32_e64 v17, s[0:1], v90, v8
	v_add_u32_e32 v152, 0x70, v150
	v_addc_co_u32_e64 v18, s[0:1], v91, v9, s[0:1]
	v_mad_u64_u32 v[19:20], s[0:1], s12, v152, 0
	v_mov_b32_e32 v16, v10
	v_lshlrev_b64 v[8:9], 4, v[15:16]
	v_add_u32_e32 v26, 0x32c, v150
	v_add_co_u32_e64 v21, s[0:1], v90, v8
	v_mov_b32_e32 v8, v20
	v_addc_co_u32_e64 v22, s[0:1], v91, v9, s[0:1]
	v_mad_u64_u32 v[23:24], s[0:1], s13, v152, v[8:9]
	v_mad_u64_u32 v[24:25], s[0:1], s12, v26, 0
	global_load_dwordx4 v[8:11], v[17:18], off
	global_load_dwordx4 v[12:15], v[21:22], off
	v_mov_b32_e32 v20, v23
	v_mov_b32_e32 v18, v25
	v_lshlrev_b64 v[16:17], 4, v[19:20]
	v_mad_u64_u32 v[18:19], s[0:1], s13, v26, v[18:19]
	v_add_u32_e32 v155, 0xa8, v150
	v_mad_u64_u32 v[19:20], s[0:1], s12, v155, 0
	v_add_co_u32_e64 v16, s[0:1], v90, v16
	v_mov_b32_e32 v25, v18
	v_mov_b32_e32 v18, v20
	v_addc_co_u32_e64 v17, s[0:1], v91, v17, s[0:1]
	v_lshlrev_b64 v[21:22], 4, v[24:25]
	v_mad_u64_u32 v[23:24], s[0:1], s13, v155, v[18:19]
	v_add_u32_e32 v26, 0x364, v150
	v_mad_u64_u32 v[24:25], s[0:1], s12, v26, 0
	v_mov_b32_e32 v20, v23
	v_add_co_u32_e64 v21, s[0:1], v90, v21
	v_lshlrev_b64 v[18:19], 4, v[19:20]
	v_mov_b32_e32 v20, v25
	v_addc_co_u32_e64 v22, s[0:1], v91, v22, s[0:1]
	v_mad_u64_u32 v[25:26], s[0:1], s13, v26, v[20:21]
	v_add_u32_e32 v156, 0xe0, v150
	v_mad_u64_u32 v[26:27], s[0:1], s12, v156, 0
	v_add_co_u32_e64 v36, s[0:1], v90, v18
	v_mov_b32_e32 v20, v27
	v_addc_co_u32_e64 v37, s[0:1], v91, v19, s[0:1]
	v_lshlrev_b64 v[18:19], 4, v[24:25]
	v_mad_u64_u32 v[23:24], s[0:1], s13, v156, v[20:21]
	v_add_u32_e32 v28, 0x39c, v150
	v_mad_u64_u32 v[24:25], s[0:1], s12, v28, 0
	v_add_co_u32_e64 v38, s[0:1], v90, v18
	v_mov_b32_e32 v27, v23
	v_mov_b32_e32 v20, v25
	v_addc_co_u32_e64 v39, s[0:1], v91, v19, s[0:1]
	v_lshlrev_b64 v[18:19], 4, v[26:27]
	v_mad_u64_u32 v[25:26], s[0:1], s13, v28, v[20:21]
	v_add_u32_e32 v134, 0x118, v150
	v_mad_u64_u32 v[26:27], s[0:1], s12, v134, 0
	v_add_co_u32_e64 v40, s[0:1], v90, v18
	v_mov_b32_e32 v20, v27
	v_addc_co_u32_e64 v41, s[0:1], v91, v19, s[0:1]
	v_lshlrev_b64 v[18:19], 4, v[24:25]
	v_mad_u64_u32 v[23:24], s[0:1], s13, v134, v[20:21]
	v_add_u32_e32 v28, 0x3d4, v150
	v_mad_u64_u32 v[24:25], s[0:1], s12, v28, 0
	v_add_co_u32_e64 v42, s[0:1], v90, v18
	v_mov_b32_e32 v27, v23
	v_mov_b32_e32 v20, v25
	v_addc_co_u32_e64 v43, s[0:1], v91, v19, s[0:1]
	v_lshlrev_b64 v[18:19], 4, v[26:27]
	;; [unrolled: 15-line block ×4, first 2 shown]
	v_mad_u64_u32 v[25:26], s[0:1], s13, v28, v[20:21]
	v_or_b32_e32 v138, 0x1c0, v150
	v_mad_u64_u32 v[26:27], s[0:1], s12, v138, 0
	v_add_co_u32_e64 v64, s[0:1], v90, v18
	v_mov_b32_e32 v20, v27
	v_addc_co_u32_e64 v65, s[0:1], v91, v19, s[0:1]
	v_lshlrev_b64 v[18:19], 4, v[24:25]
	v_mad_u64_u32 v[23:24], s[0:1], s13, v138, v[20:21]
	v_add_u32_e32 v28, 0x47c, v150
	v_mad_u64_u32 v[24:25], s[0:1], s12, v28, 0
	v_add_co_u32_e64 v66, s[0:1], v90, v18
	v_mov_b32_e32 v27, v23
	v_mov_b32_e32 v20, v25
	v_addc_co_u32_e64 v67, s[0:1], v91, v19, s[0:1]
	v_lshlrev_b64 v[18:19], 4, v[26:27]
	v_mad_u64_u32 v[25:26], s[0:1], s13, v28, v[20:21]
	v_add_u32_e32 v139, 0x1f8, v150
	v_mad_u64_u32 v[26:27], s[0:1], s12, v139, 0
	v_add_co_u32_e64 v88, s[0:1], v90, v18
	v_mov_b32_e32 v20, v27
	v_addc_co_u32_e64 v89, s[0:1], v91, v19, s[0:1]
	v_lshlrev_b64 v[18:19], 4, v[24:25]
	v_mad_u64_u32 v[23:24], s[0:1], s13, v139, v[20:21]
	v_add_u32_e32 v28, 0x4b4, v150
	v_mad_u64_u32 v[24:25], s[0:1], s12, v28, 0
	v_add_co_u32_e64 v100, s[0:1], v90, v18
	v_mov_b32_e32 v27, v23
	v_mov_b32_e32 v20, v25
	v_addc_co_u32_e64 v101, s[0:1], v91, v19, s[0:1]
	v_lshlrev_b64 v[18:19], 4, v[26:27]
	v_mad_u64_u32 v[25:26], s[0:1], s13, v28, v[20:21]
	v_add_u32_e32 v140, 0x230, v150
	v_mad_u64_u32 v[26:27], s[0:1], s12, v140, 0
	v_add_co_u32_e64 v102, s[0:1], v90, v18
	v_mov_b32_e32 v20, v27
	v_addc_co_u32_e64 v103, s[0:1], v91, v19, s[0:1]
	v_lshlrev_b64 v[18:19], 4, v[24:25]
	v_mad_u64_u32 v[23:24], s[0:1], s13, v140, v[20:21]
	v_add_u32_e32 v28, 0x4ec, v150
	v_mad_u64_u32 v[24:25], s[0:1], s12, v28, 0
	v_add_co_u32_e64 v104, s[0:1], v90, v18
	v_mov_b32_e32 v27, v23
	v_mov_b32_e32 v20, v25
	v_addc_co_u32_e64 v105, s[0:1], v91, v19, s[0:1]
	v_lshlrev_b64 v[18:19], 4, v[26:27]
	v_mad_u64_u32 v[25:26], s[0:1], s13, v28, v[20:21]
	v_add_co_u32_e64 v106, s[0:1], v90, v18
	v_add_u32_e32 v141, 0x268, v150
	v_addc_co_u32_e64 v107, s[0:1], v91, v19, s[0:1]
	v_lshlrev_b64 v[18:19], 4, v[24:25]
	v_mad_u64_u32 v[23:24], s[0:1], s12, v141, 0
	v_add_co_u32_e64 v108, s[0:1], v90, v18
	v_mov_b32_e32 v18, v24
	v_addc_co_u32_e64 v109, s[0:1], v91, v19, s[0:1]
	v_mad_u64_u32 v[18:19], s[0:1], s13, v141, v[18:19]
	v_add_u32_e32 v25, 0x524, v150
	v_mad_u64_u32 v[19:20], s[0:1], s12, v25, 0
	v_mov_b32_e32 v24, v18
	global_load_dwordx4 v[56:59], v[16:17], off
	global_load_dwordx4 v[84:87], v[21:22], off
	v_mov_b32_e32 v18, v20
	v_mad_u64_u32 v[20:21], s[0:1], s13, v25, v[18:19]
	v_lshlrev_b64 v[16:17], 4, v[23:24]
	v_add_co_u32_e64 v110, s[0:1], v90, v16
	v_addc_co_u32_e64 v111, s[0:1], v91, v17, s[0:1]
	v_lshlrev_b64 v[16:17], 4, v[19:20]
	v_add_co_u32_e64 v112, s[0:1], v90, v16
	v_addc_co_u32_e64 v113, s[0:1], v91, v17, s[0:1]
	global_load_dwordx4 v[72:75], v[36:37], off
	global_load_dwordx4 v[92:95], v[38:39], off
	;; [unrolled: 1-line block ×13, first 2 shown]
                                        ; kill: killed $vgpr40 killed $vgpr41
                                        ; kill: killed $vgpr42 killed $vgpr43
                                        ; kill: killed $vgpr102 killed $vgpr103
                                        ; kill: killed $vgpr36 killed $vgpr37
                                        ; kill: killed $vgpr38 killed $vgpr39
                                        ; kill: killed $vgpr88 killed $vgpr89
                                        ; kill: killed $vgpr100 killed $vgpr101
                                        ; kill: killed $vgpr64 killed $vgpr65
                                        ; kill: killed $vgpr66 killed $vgpr67
                                        ; kill: killed $vgpr52 killed $vgpr53
                                        ; kill: killed $vgpr54 killed $vgpr55
                                        ; kill: killed $vgpr44 killed $vgpr45
                                        ; kill: killed $vgpr46 killed $vgpr47
	s_nop 0
	global_load_dwordx4 v[64:67], v[104:105], off
	global_load_dwordx4 v[40:43], v[106:107], off
	;; [unrolled: 1-line block ×5, first 2 shown]
	v_cmp_gt_u32_e64 s[0:1], 28, v150
                                        ; implicit-def: $vgpr88_vgpr89
                                        ; implicit-def: $vgpr100_vgpr101
	s_and_saveexec_b64 s[4:5], s[0:1]
	s_cbranch_execz .LBB0_14
; %bb.13:
	v_or_b32_e32 v102, 0x2a0, v150
	v_mad_u64_u32 v[88:89], s[0:1], s12, v102, 0
	v_add_u32_e32 v104, 0x55c, v150
	v_mad_u64_u32 v[100:101], s[0:1], s12, v104, 0
	v_mad_u64_u32 v[102:103], s[0:1], s13, v102, v[89:90]
	v_mov_b32_e32 v89, v102
	v_mad_u64_u32 v[101:102], s[0:1], s13, v104, v[101:102]
	v_lshlrev_b64 v[88:89], 4, v[88:89]
	v_add_co_u32_e64 v104, s[0:1], v90, v88
	v_addc_co_u32_e64 v105, s[0:1], v91, v89, s[0:1]
	v_lshlrev_b64 v[88:89], 4, v[100:101]
	v_add_co_u32_e64 v106, s[0:1], v90, v88
	v_addc_co_u32_e64 v107, s[0:1], v91, v89, s[0:1]
	global_load_dwordx4 v[88:91], v[104:105], off
	global_load_dwordx4 v[100:103], v[106:107], off
.LBB0_14:
	s_or_b64 exec, exec, s[4:5]
	v_mov_b32_e32 v154, v151
.LBB0_15:
	s_or_b64 exec, exec, s[2:3]
	s_waitcnt vmcnt(22)
	v_add_f64 v[106:107], v[0:1], -v[4:5]
	s_waitcnt vmcnt(16)
	v_add_f64 v[118:119], v[72:73], -v[92:93]
	;; [unrolled: 2-line block ×4, first 2 shown]
	v_add_f64 v[110:111], v[8:9], -v[12:13]
	v_add_f64 v[114:115], v[56:57], -v[84:85]
	v_lshl_add_u32 v84, v150, 4, 0
	v_lshl_add_u32 v93, v155, 4, 0
	v_fma_f64 v[104:105], v[0:1], 2.0, -v[106:107]
	v_fma_f64 v[116:117], v[72:73], 2.0, -v[118:119]
	;; [unrolled: 1-line block ×6, first 2 shown]
	v_lshl_add_u32 v92, v156, 4, 0
	v_lshl_add_u32 v32, v134, 4, 0
	;; [unrolled: 1-line block ×4, first 2 shown]
	s_waitcnt vmcnt(10)
	v_add_f64 v[130:131], v[28:29], -v[68:69]
	ds_write_b128 v84, v[104:107]
	ds_write_b128 v85, v[108:111]
	;; [unrolled: 1-line block ×4, first 2 shown]
	s_waitcnt vmcnt(8)
	v_add_f64 v[110:111], v[24:25], -v[60:61]
	ds_write_b128 v92, v[120:123]
	s_waitcnt vmcnt(6)
	v_add_f64 v[114:115], v[20:21], -v[48:49]
	ds_write_b128 v32, v[124:127]
	s_waitcnt vmcnt(4)
	v_add_f64 v[118:119], v[16:17], -v[64:65]
	s_waitcnt vmcnt(2)
	v_add_f64 v[122:123], v[40:41], -v[52:53]
	s_waitcnt vmcnt(0)
	v_add_f64 v[126:127], v[36:37], -v[44:45]
	v_add_f64 v[106:107], v[88:89], -v[100:101]
	v_fma_f64 v[128:129], v[28:29], 2.0, -v[130:131]
	v_fma_f64 v[108:109], v[24:25], 2.0, -v[110:111]
	;; [unrolled: 1-line block ×3, first 2 shown]
	v_add_u32_e32 v153, 0x2a0, v150
	v_fma_f64 v[116:117], v[16:17], 2.0, -v[118:119]
	v_fma_f64 v[120:121], v[40:41], 2.0, -v[122:123]
	;; [unrolled: 1-line block ×4, first 2 shown]
	v_lshl_add_u32 v33, v135, 4, 0
	v_lshl_add_u32 v48, v136, 4, 0
	;; [unrolled: 1-line block ×6, first 2 shown]
	v_cmp_gt_u32_e64 s[0:1], 28, v150
	v_lshl_add_u32 v28, v153, 4, 0
	ds_write_b128 v33, v[128:131]
	ds_write_b128 v48, v[108:111]
	;; [unrolled: 1-line block ×6, first 2 shown]
	s_and_saveexec_b64 s[2:3], s[0:1]
	s_cbranch_execz .LBB0_17
; %bb.16:
	ds_write_b128 v28, v[104:107]
.LBB0_17:
	s_or_b64 exec, exec, s[2:3]
	v_lshl_add_u32 v157, v150, 3, 0
	v_add_u32_e32 v0, 0x1000, v157
	s_waitcnt lgkmcnt(0)
	; wave barrier
	s_waitcnt lgkmcnt(0)
	ds_read2_b64 v[108:111], v0 offset0:188 offset1:244
	v_add_u32_e32 v0, 0x1800, v157
	v_lshl_add_u32 v163, v156, 3, 0
	v_lshlrev_b32_e32 v36, 3, v134
	v_lshlrev_b32_e32 v37, 3, v135
	v_add_u32_e32 v29, 0x2000, v157
	v_lshlrev_b32_e32 v40, 3, v136
	v_lshl_add_u32 v158, v154, 3, 0
	v_lshl_add_u32 v159, v152, 3, 0
	ds_read2_b64 v[112:115], v0 offset0:44 offset1:100
	v_lshl_add_u32 v160, v155, 3, 0
	ds_read_b64 v[4:5], v157
	ds_read_b64 v[8:9], v158
	;; [unrolled: 1-line block ×4, first 2 shown]
	ds_read2_b64 v[116:119], v0 offset0:156 offset1:212
	v_sub_u32_e32 v0, v32, v36
	v_sub_u32_e32 v1, v33, v37
	ds_read2_b64 v[120:123], v29 offset0:12 offset1:68
	v_sub_u32_e32 v41, v48, v40
	ds_read_b64 v[20:21], v163
	ds_read_b64 v[24:25], v0
	ds_read_b64 v[60:61], v1
	ds_read_b64 v[64:65], v41
	ds_read2_b64 v[128:131], v29 offset0:124 offset1:180
	v_add_u32_e32 v29, 0x2400, v157
	v_lshlrev_b32_e32 v41, 3, v138
	v_lshlrev_b32_e32 v1, 3, v140
	ds_read2_b64 v[124:127], v29 offset0:108 offset1:164
	v_lshlrev_b32_e32 v29, 3, v141
	v_sub_u32_e32 v44, v49, v41
	v_lshlrev_b32_e32 v0, 3, v139
	v_sub_u32_e32 v76, v56, v1
	v_sub_u32_e32 v80, v52, v29
	v_sub_u32_e32 v45, v53, v0
	ds_read_b64 v[68:69], v44
	ds_read_b64 v[72:73], v45
	;; [unrolled: 1-line block ×4, first 2 shown]
	s_and_saveexec_b64 s[2:3], s[0:1]
	s_cbranch_execz .LBB0_19
; %bb.18:
	ds_read_b64 v[104:105], v157 offset:5376
	ds_read_b64 v[106:107], v157 offset:10976
.LBB0_19:
	s_or_b64 exec, exec, s[2:3]
	v_add_f64 v[96:97], v[2:3], -v[6:7]
	v_add_f64 v[148:149], v[74:75], -v[94:95]
	;; [unrolled: 1-line block ×5, first 2 shown]
	v_sub_u32_e32 v45, 0, v36
	v_sub_u32_e32 v44, 0, v37
	v_add_f64 v[36:37], v[34:35], -v[78:79]
	v_fma_f64 v[94:95], v[2:3], 2.0, -v[96:97]
	v_add_f64 v[2:3], v[90:91], -v[102:103]
	v_add_f64 v[170:171], v[30:31], -v[70:71]
	;; [unrolled: 1-line block ×3, first 2 shown]
	v_sub_u32_e32 v89, 0, v40
	v_sub_u32_e32 v88, 0, v41
	;; [unrolled: 1-line block ×4, first 2 shown]
	v_add_f64 v[178:179], v[22:23], -v[50:51]
	v_add_f64 v[182:183], v[18:19], -v[66:67]
	;; [unrolled: 1-line block ×4, first 2 shown]
	v_fma_f64 v[0:1], v[90:91], 2.0, -v[2:3]
	v_fma_f64 v[98:99], v[10:11], 2.0, -v[100:101]
	;; [unrolled: 1-line block ×7, first 2 shown]
	v_sub_u32_e32 v6, 0, v29
	v_fma_f64 v[172:173], v[26:27], 2.0, -v[174:175]
	v_fma_f64 v[176:177], v[22:23], 2.0, -v[178:179]
	;; [unrolled: 1-line block ×5, first 2 shown]
	s_waitcnt lgkmcnt(0)
	; wave barrier
	s_waitcnt lgkmcnt(0)
	ds_write_b128 v84, v[94:97]
	ds_write_b128 v85, v[98:101]
	;; [unrolled: 1-line block ×12, first 2 shown]
	s_and_saveexec_b64 s[2:3], s[0:1]
	s_cbranch_execz .LBB0_21
; %bb.20:
	ds_write_b128 v28, v[0:3]
.LBB0_21:
	s_or_b64 exec, exec, s[2:3]
	v_add_u32_e32 v10, 0x1000, v157
	s_waitcnt lgkmcnt(0)
	; wave barrier
	s_waitcnt lgkmcnt(0)
	ds_read2_b64 v[36:39], v10 offset0:188 offset1:244
	v_add_u32_e32 v10, 0x1800, v157
	ds_read2_b64 v[28:31], v10 offset0:44 offset1:100
	ds_read_b64 v[78:79], v157
	ds_read_b64 v[82:83], v158
	;; [unrolled: 1-line block ×4, first 2 shown]
	ds_read2_b64 v[40:43], v10 offset0:156 offset1:212
	v_add_u32_e32 v10, 0x2000, v157
	v_add_u32_e32 v166, v49, v88
	v_add_u32_e32 v162, v56, v7
	v_add_u32_e32 v7, 0x2400, v157
	v_lshlrev_b32_e32 v149, 1, v136
	v_add_u32_e32 v161, v32, v45
	v_add_u32_e32 v165, v33, v44
	ds_read2_b64 v[44:47], v10 offset0:12 offset1:68
	v_add_u32_e32 v167, v48, v89
	ds_read_b64 v[136:137], v163
	ds_read_b64 v[62:63], v161
	;; [unrolled: 1-line block ×4, first 2 shown]
	ds_read2_b64 v[48:51], v10 offset0:124 offset1:180
	v_add_u32_e32 v168, v53, v14
	ds_read2_b64 v[32:35], v7 offset0:108 offset1:164
	v_add_u32_e32 v169, v52, v6
	ds_read_b64 v[92:93], v166
	ds_read_b64 v[94:95], v168
	;; [unrolled: 1-line block ×4, first 2 shown]
	v_lshlrev_b32_e32 v142, 1, v150
	v_lshlrev_b32_e32 v143, 1, v154
	;; [unrolled: 1-line block ×11, first 2 shown]
	s_and_saveexec_b64 s[2:3], s[0:1]
	s_cbranch_execz .LBB0_23
; %bb.22:
	ds_read_b64 v[0:1], v157 offset:5376
	ds_read_b64 v[2:3], v157 offset:10976
.LBB0_23:
	s_or_b64 exec, exec, s[2:3]
	v_and_b32_e32 v170, 1, v150
	v_lshlrev_b32_e32 v6, 4, v170
	global_load_dwordx4 v[52:55], v6, s[8:9]
	s_movk_i32 s2, 0x7c
	s_movk_i32 s3, 0xfc
	;; [unrolled: 1-line block ×3, first 2 shown]
	v_and_or_b32 v6, v142, s2, v170
	v_and_or_b32 v7, v143, s3, v170
	s_movk_i32 s5, 0x3fc
	s_movk_i32 s6, 0x2fc
	v_and_or_b32 v10, v144, s4, v170
	v_and_or_b32 v11, v145, s4, v170
	v_lshl_add_u32 v171, v6, 3, 0
	v_lshl_add_u32 v172, v7, 3, 0
	v_and_or_b32 v14, v146, s5, v170
	v_and_or_b32 v15, v147, s6, v170
	v_lshl_add_u32 v173, v10, 3, 0
	v_lshl_add_u32 v174, v11, 3, 0
	s_movk_i32 s7, 0x7fc
	v_and_or_b32 v18, v148, s5, v170
	v_and_or_b32 v19, v149, s5, v170
	v_lshl_add_u32 v175, v14, 3, 0
	v_lshl_add_u32 v176, v15, 3, 0
	s_movk_i32 s10, 0x4fc
	s_movk_i32 s11, 0x5fc
	v_and_or_b32 v22, v164, s5, v170
	v_and_or_b32 v23, v139, s7, v170
	v_lshl_add_u32 v177, v18, 3, 0
	v_lshl_add_u32 v178, v19, 3, 0
	v_and_or_b32 v26, v140, s10, v170
	v_and_or_b32 v27, v141, s11, v170
	v_lshl_add_u32 v179, v22, 3, 0
	v_lshl_add_u32 v180, v23, 3, 0
	;; [unrolled: 1-line block ×4, first 2 shown]
	v_lshlrev_b32_e32 v138, 1, v153
	s_waitcnt lgkmcnt(0)
	; wave barrier
	s_waitcnt vmcnt(0) lgkmcnt(0)
	v_mul_f64 v[6:7], v[36:37], v[54:55]
	v_mul_f64 v[56:57], v[44:45], v[54:55]
	;; [unrolled: 1-line block ×13, first 2 shown]
	v_fma_f64 v[6:7], v[108:109], v[52:53], v[6:7]
	v_fma_f64 v[56:57], v[120:121], v[52:53], v[56:57]
	v_fma_f64 v[102:103], v[106:107], v[52:53], v[102:103]
	v_fma_f64 v[10:11], v[110:111], v[52:53], v[10:11]
	v_fma_f64 v[14:15], v[112:113], v[52:53], v[14:15]
	v_fma_f64 v[18:19], v[114:115], v[52:53], v[18:19]
	v_fma_f64 v[22:23], v[116:117], v[52:53], v[22:23]
	v_fma_f64 v[26:27], v[118:119], v[52:53], v[26:27]
	v_fma_f64 v[58:59], v[122:123], v[52:53], v[58:59]
	v_fma_f64 v[74:75], v[128:129], v[52:53], v[74:75]
	v_fma_f64 v[88:89], v[130:131], v[52:53], v[88:89]
	v_fma_f64 v[90:91], v[124:125], v[52:53], v[90:91]
	v_fma_f64 v[100:101], v[126:127], v[52:53], v[100:101]
	v_add_f64 v[6:7], v[4:5], -v[6:7]
	v_add_f64 v[134:135], v[60:61], -v[56:57]
	;; [unrolled: 1-line block ×13, first 2 shown]
	v_fma_f64 v[4:5], v[4:5], 2.0, -v[6:7]
	v_fma_f64 v[58:59], v[104:105], 2.0, -v[56:57]
	;; [unrolled: 1-line block ×13, first 2 shown]
	ds_write2_b64 v171, v[4:5], v[6:7] offset1:2
	ds_write2_b64 v172, v[8:9], v[10:11] offset1:2
	;; [unrolled: 1-line block ×12, first 2 shown]
	s_and_saveexec_b64 s[2:3], s[0:1]
	s_cbranch_execz .LBB0_25
; %bb.24:
	s_movk_i32 s4, 0x57c
	v_and_or_b32 v4, v138, s4, v170
	v_lshl_add_u32 v4, v4, 3, 0
	ds_write2_b64 v4, v[58:59], v[56:57] offset1:2
.LBB0_25:
	s_or_b64 exec, exec, s[2:3]
	v_add_u32_e32 v4, 0x1000, v157
	s_waitcnt lgkmcnt(0)
	; wave barrier
	s_waitcnt lgkmcnt(0)
	ds_read2_b64 v[12:15], v4 offset0:188 offset1:244
	v_add_u32_e32 v4, 0x1800, v157
	ds_read2_b64 v[16:19], v4 offset0:44 offset1:100
	ds_read_b64 v[64:65], v157
	ds_read_b64 v[68:69], v158
	ds_read_b64 v[72:73], v159
	ds_read_b64 v[74:75], v160
	ds_read2_b64 v[20:23], v4 offset0:156 offset1:212
	v_add_u32_e32 v4, 0x2000, v157
	ds_read2_b64 v[24:27], v4 offset0:12 offset1:68
	ds_read_b64 v[76:77], v163
	ds_read_b64 v[80:81], v161
	ds_read_b64 v[88:89], v165
	ds_read_b64 v[90:91], v167
	;; [unrolled: 7-line block ×3, first 2 shown]
	s_and_saveexec_b64 s[2:3], s[0:1]
	s_cbranch_execz .LBB0_27
; %bb.26:
	ds_read_b64 v[58:59], v157 offset:5376
	ds_read_b64 v[56:57], v157 offset:10976
.LBB0_27:
	s_or_b64 exec, exec, s[2:3]
	v_mul_f64 v[60:61], v[108:109], v[54:55]
	v_mul_f64 v[108:109], v[110:111], v[54:55]
	;; [unrolled: 1-line block ×8, first 2 shown]
	v_fma_f64 v[36:37], v[36:37], v[52:53], -v[60:61]
	v_fma_f64 v[38:39], v[38:39], v[52:53], -v[108:109]
	v_mul_f64 v[60:61], v[122:123], v[54:55]
	v_mul_f64 v[108:109], v[128:129], v[54:55]
	v_fma_f64 v[28:29], v[28:29], v[52:53], -v[110:111]
	v_fma_f64 v[30:31], v[30:31], v[52:53], -v[112:113]
	;; [unrolled: 1-line block ×4, first 2 shown]
	v_add_f64 v[36:37], v[78:79], -v[36:37]
	v_fma_f64 v[44:45], v[44:45], v[52:53], -v[118:119]
	v_fma_f64 v[46:47], v[46:47], v[52:53], -v[60:61]
	;; [unrolled: 1-line block ×3, first 2 shown]
	v_mul_f64 v[60:61], v[124:125], v[54:55]
	v_mul_f64 v[108:109], v[126:127], v[54:55]
	;; [unrolled: 1-line block ×3, first 2 shown]
	v_fma_f64 v[50:51], v[50:51], v[52:53], -v[120:121]
	v_add_f64 v[38:39], v[82:83], -v[38:39]
	v_add_f64 v[28:29], v[84:85], -v[28:29]
	;; [unrolled: 1-line block ×4, first 2 shown]
	v_fma_f64 v[32:33], v[32:33], v[52:53], -v[60:61]
	v_fma_f64 v[34:35], v[34:35], v[52:53], -v[108:109]
	;; [unrolled: 1-line block ×3, first 2 shown]
	v_fma_f64 v[52:53], v[78:79], 2.0, -v[36:37]
	v_add_f64 v[42:43], v[62:63], -v[42:43]
	v_add_f64 v[44:45], v[66:67], -v[44:45]
	v_add_f64 v[46:47], v[70:71], -v[46:47]
	v_add_f64 v[48:49], v[92:93], -v[48:49]
	v_add_f64 v[50:51], v[94:95], -v[50:51]
	v_add_f64 v[32:33], v[96:97], -v[32:33]
	v_add_f64 v[78:79], v[0:1], -v[2:3]
	v_add_f64 v[34:35], v[98:99], -v[34:35]
	v_fma_f64 v[54:55], v[82:83], 2.0, -v[38:39]
	v_fma_f64 v[82:83], v[84:85], 2.0, -v[28:29]
	;; [unrolled: 1-line block ×12, first 2 shown]
	s_waitcnt lgkmcnt(0)
	; wave barrier
	s_waitcnt lgkmcnt(0)
	ds_write2_b64 v171, v[52:53], v[36:37] offset1:2
	ds_write2_b64 v172, v[54:55], v[38:39] offset1:2
	;; [unrolled: 1-line block ×12, first 2 shown]
	s_and_saveexec_b64 s[2:3], s[0:1]
	s_cbranch_execz .LBB0_29
; %bb.28:
	s_movk_i32 s4, 0x57c
	v_and_or_b32 v0, v138, s4, v170
	v_lshl_add_u32 v0, v0, 3, 0
	ds_write2_b64 v0, v[60:61], v[78:79] offset1:2
.LBB0_29:
	s_or_b64 exec, exec, s[2:3]
	v_add_u32_e32 v0, 0x1000, v157
	s_waitcnt lgkmcnt(0)
	; wave barrier
	s_waitcnt lgkmcnt(0)
	ds_read2_b64 v[36:39], v0 offset0:188 offset1:244
	v_add_u32_e32 v0, 0x1800, v157
	v_add_u32_e32 v2, 0x2000, v157
	ds_read2_b64 v[40:43], v0 offset0:44 offset1:100
	ds_read_b64 v[94:95], v157
	ds_read_b64 v[96:97], v158
	;; [unrolled: 1-line block ×4, first 2 shown]
	ds_read2_b64 v[44:47], v0 offset0:156 offset1:212
	ds_read2_b64 v[48:51], v2 offset0:12 offset1:68
	ds_read_b64 v[0:1], v163
	ds_read_b64 v[62:63], v161
	;; [unrolled: 1-line block ×4, first 2 shown]
	ds_read2_b64 v[28:31], v2 offset0:124 offset1:180
	v_add_u32_e32 v2, 0x2400, v157
	ds_read2_b64 v[32:35], v2 offset0:108 offset1:164
	ds_read_b64 v[82:83], v166
	ds_read_b64 v[84:85], v168
	;; [unrolled: 1-line block ×4, first 2 shown]
	s_and_saveexec_b64 s[2:3], s[0:1]
	s_cbranch_execz .LBB0_31
; %bb.30:
	ds_read_b64 v[60:61], v157 offset:5376
	ds_read_b64 v[78:79], v157 offset:10976
.LBB0_31:
	s_or_b64 exec, exec, s[2:3]
	v_and_b32_e32 v108, 3, v150
	v_lshlrev_b32_e32 v2, 4, v108
	global_load_dwordx4 v[52:55], v2, s[8:9] offset:32
	s_movk_i32 s2, 0x78
	s_movk_i32 s3, 0xf8
	v_and_or_b32 v2, v142, s2, v108
	v_and_or_b32 v3, v143, s3, v108
	v_lshl_add_u32 v109, v2, 3, 0
	v_lshl_add_u32 v110, v3, 3, 0
	s_movk_i32 s7, 0x7f8
	s_movk_i32 s10, 0x4f8
	;; [unrolled: 1-line block ×6, first 2 shown]
	v_and_or_b32 v118, v139, s7, v108
	v_and_or_b32 v119, v140, s10, v108
	v_and_or_b32 v111, v144, s4, v108
	v_and_or_b32 v112, v145, s4, v108
	v_and_or_b32 v113, v146, s5, v108
	v_and_or_b32 v114, v147, s6, v108
	v_and_or_b32 v115, v148, s5, v108
	v_and_or_b32 v117, v164, s5, v108
	v_and_or_b32 v120, v141, s11, v108
	v_and_or_b32 v116, v149, s5, v108
	v_lshl_add_u32 v111, v111, 3, 0
	v_lshl_add_u32 v112, v112, 3, 0
	;; [unrolled: 1-line block ×10, first 2 shown]
	s_waitcnt lgkmcnt(0)
	; wave barrier
	s_waitcnt vmcnt(0) lgkmcnt(0)
	v_mul_f64 v[2:3], v[36:37], v[54:55]
	v_mul_f64 v[121:122], v[38:39], v[54:55]
	;; [unrolled: 1-line block ×13, first 2 shown]
	v_fma_f64 v[2:3], v[12:13], v[52:53], v[2:3]
	v_fma_f64 v[121:122], v[14:15], v[52:53], v[121:122]
	;; [unrolled: 1-line block ×13, first 2 shown]
	v_add_f64 v[166:167], v[64:65], -v[2:3]
	v_add_f64 v[121:122], v[68:69], -v[121:122]
	;; [unrolled: 1-line block ×13, first 2 shown]
	v_fma_f64 v[64:65], v[64:65], 2.0, -v[166:167]
	v_fma_f64 v[68:69], v[68:69], 2.0, -v[121:122]
	;; [unrolled: 1-line block ×12, first 2 shown]
	ds_write2_b64 v109, v[64:65], v[166:167] offset1:4
	ds_write2_b64 v110, v[68:69], v[121:122] offset1:4
	ds_write2_b64 v111, v[72:73], v[123:124] offset1:4
	ds_write2_b64 v112, v[74:75], v[125:126] offset1:4
	ds_write2_b64 v113, v[76:77], v[127:128] offset1:4
	ds_write2_b64 v114, v[80:81], v[129:130] offset1:4
	ds_write2_b64 v115, v[88:89], v[136:137] offset1:4
	ds_write2_b64 v116, v[90:91], v[139:140] offset1:4
	ds_write2_b64 v117, v[100:101], v[141:142] offset1:4
	ds_write2_b64 v118, v[102:103], v[143:144] offset1:4
	ds_write2_b64 v119, v[104:105], v[145:146] offset1:4
	ds_write2_b64 v120, v[134:135], v[147:148] offset1:4
	s_and_saveexec_b64 s[2:3], s[0:1]
	s_cbranch_execz .LBB0_33
; %bb.32:
	v_fma_f64 v[58:59], v[58:59], 2.0, -v[2:3]
	s_movk_i32 s4, 0x578
	v_and_or_b32 v64, v138, s4, v108
	v_lshl_add_u32 v64, v64, 3, 0
	ds_write2_b64 v64, v[58:59], v[2:3] offset1:4
.LBB0_33:
	s_or_b64 exec, exec, s[2:3]
	v_mul_f64 v[12:13], v[12:13], v[54:55]
	v_mul_f64 v[18:19], v[18:19], v[54:55]
	;; [unrolled: 1-line block ×9, first 2 shown]
	v_fma_f64 v[12:13], v[36:37], v[52:53], -v[12:13]
	v_fma_f64 v[18:19], v[42:43], v[52:53], -v[18:19]
	v_mul_f64 v[8:9], v[8:9], v[54:55]
	v_mul_f64 v[10:11], v[10:11], v[54:55]
	v_fma_f64 v[14:15], v[38:39], v[52:53], -v[14:15]
	v_fma_f64 v[16:17], v[40:41], v[52:53], -v[16:17]
	;; [unrolled: 1-line block ×3, first 2 shown]
	v_mul_f64 v[6:7], v[6:7], v[54:55]
	v_mul_f64 v[28:29], v[56:57], v[54:55]
	v_fma_f64 v[20:21], v[44:45], v[52:53], -v[20:21]
	v_fma_f64 v[22:23], v[46:47], v[52:53], -v[22:23]
	;; [unrolled: 1-line block ×4, first 2 shown]
	v_add_f64 v[56:57], v[94:95], -v[12:13]
	v_add_f64 v[68:69], v[106:107], -v[18:19]
	v_fma_f64 v[8:9], v[32:33], v[52:53], -v[8:9]
	v_fma_f64 v[10:11], v[34:35], v[52:53], -v[10:11]
	v_add_f64 v[58:59], v[96:97], -v[14:15]
	v_add_f64 v[64:65], v[98:99], -v[16:17]
	v_fma_f64 v[6:7], v[30:31], v[52:53], -v[6:7]
	v_fma_f64 v[12:13], v[78:79], v[52:53], -v[28:29]
	v_add_f64 v[80:81], v[0:1], -v[20:21]
	v_add_u32_e32 v101, 0x1800, v157
	v_add_u32_e32 v100, 0x2000, v157
	;; [unrolled: 1-line block ×4, first 2 shown]
	v_fma_f64 v[72:73], v[94:95], 2.0, -v[56:57]
	v_fma_f64 v[78:79], v[106:107], 2.0, -v[68:69]
	v_add_f64 v[88:89], v[62:63], -v[22:23]
	v_add_f64 v[90:91], v[66:67], -v[24:25]
	;; [unrolled: 1-line block ×5, first 2 shown]
	s_waitcnt lgkmcnt(0)
	; wave barrier
	s_waitcnt lgkmcnt(0)
	ds_read_b64 v[52:53], v162
	ds_read2_b64 v[32:35], v101 offset0:72 offset1:128
	ds_read2_b64 v[8:11], v100 offset0:40 offset1:96
	;; [unrolled: 1-line block ×6, first 2 shown]
	ds_read_b64 v[50:51], v157
	ds_read_b64 v[48:49], v158
	;; [unrolled: 1-line block ×4, first 2 shown]
	ds_read2_b64 v[20:23], v104 offset0:192 offset1:248
	v_fma_f64 v[74:75], v[96:97], 2.0, -v[58:59]
	v_fma_f64 v[76:77], v[98:99], 2.0, -v[64:65]
	v_add_f64 v[96:97], v[82:83], -v[4:5]
	v_add_f64 v[98:99], v[84:85], -v[6:7]
	;; [unrolled: 1-line block ×3, first 2 shown]
	v_add_u32_e32 v4, 0x1400, v157
	v_add_u32_e32 v5, 0x2800, v157
	v_fma_f64 v[121:122], v[0:1], 2.0, -v[80:81]
	ds_read2_b64 v[16:19], v4 offset0:88 offset1:144
	ds_read2_b64 v[12:15], v5 offset0:8 offset1:64
	ds_read_b64 v[54:55], v161
	ds_read_b64 v[0:1], v163
	v_fma_f64 v[62:63], v[62:63], 2.0, -v[88:89]
	v_fma_f64 v[66:67], v[66:67], 2.0, -v[90:91]
	;; [unrolled: 1-line block ×7, first 2 shown]
	s_waitcnt lgkmcnt(0)
	; wave barrier
	s_waitcnt lgkmcnt(0)
	ds_write2_b64 v109, v[72:73], v[56:57] offset1:4
	ds_write2_b64 v110, v[74:75], v[58:59] offset1:4
	;; [unrolled: 1-line block ×12, first 2 shown]
	s_and_saveexec_b64 s[2:3], s[0:1]
	s_cbranch_execz .LBB0_35
; %bb.34:
	v_fma_f64 v[56:57], v[60:61], 2.0, -v[6:7]
	s_movk_i32 s0, 0x578
	v_and_or_b32 v58, v138, s0, v108
	v_lshl_add_u32 v58, v58, 3, 0
	ds_write2_b64 v58, v[56:57], v[6:7] offset1:4
.LBB0_35:
	s_or_b64 exec, exec, s[2:3]
	v_and_b32_e32 v108, 7, v150
	v_lshlrev_b32_e32 v56, 6, v108
	s_waitcnt lgkmcnt(0)
	; wave barrier
	s_waitcnt lgkmcnt(0)
	global_load_dwordx4 v[64:67], v56, s[8:9] offset:96
	global_load_dwordx4 v[78:81], v56, s[8:9] offset:112
	;; [unrolled: 1-line block ×4, first 2 shown]
	ds_read_b64 v[76:77], v162
	ds_read2_b64 v[68:71], v101 offset0:72 offset1:128
	ds_read2_b64 v[164:167], v100 offset0:40 offset1:96
	;; [unrolled: 1-line block ×6, first 2 shown]
	ds_read_b64 v[62:63], v157
	ds_read_b64 v[60:61], v158
	;; [unrolled: 1-line block ×4, first 2 shown]
	ds_read2_b64 v[172:175], v104 offset0:192 offset1:248
	ds_read2_b64 v[176:179], v4 offset0:88 offset1:144
	ds_read2_b64 v[180:183], v5 offset0:8 offset1:64
	ds_read_b64 v[94:95], v161
	ds_read_b64 v[4:5], v163
	s_mov_b32 s4, 0x134454ff
	s_mov_b32 s5, 0xbfee6f0e
	;; [unrolled: 1-line block ×10, first 2 shown]
	s_waitcnt lgkmcnt(0)
	; wave barrier
	s_waitcnt lgkmcnt(0)
	v_cmp_gt_u32_e64 s[0:1], 32, v150
	s_waitcnt vmcnt(3)
	v_mul_f64 v[102:103], v[94:95], v[66:67]
	s_waitcnt vmcnt(2)
	v_mul_f64 v[109:110], v[76:77], v[80:81]
	;; [unrolled: 2-line block ×4, first 2 shown]
	v_mul_f64 v[106:107], v[54:55], v[66:67]
	v_mul_f64 v[111:112], v[52:53], v[80:81]
	;; [unrolled: 1-line block ×6, first 2 shown]
	v_fma_f64 v[146:147], v[54:55], v[64:65], v[102:103]
	v_fma_f64 v[142:143], v[52:53], v[78:79], v[109:110]
	;; [unrolled: 1-line block ×4, first 2 shown]
	v_mul_f64 v[119:120], v[10:11], v[98:99]
	v_mul_f64 v[121:122], v[72:73], v[66:67]
	;; [unrolled: 1-line block ×21, first 2 shown]
	v_fma_f64 v[140:141], v[94:95], v[64:65], -v[106:107]
	v_fma_f64 v[134:135], v[76:77], v[78:79], -v[111:112]
	;; [unrolled: 1-line block ×3, first 2 shown]
	v_fma_f64 v[110:111], v[24:25], v[82:83], v[200:201]
	v_fma_f64 v[94:95], v[26:27], v[82:83], v[216:217]
	;; [unrolled: 1-line block ×3, first 2 shown]
	v_add_f64 v[22:23], v[146:147], -v[142:143]
	v_add_f64 v[24:25], v[148:149], -v[144:145]
	v_add_f64 v[26:27], v[146:147], v[148:149]
	v_mul_f64 v[184:185], v[70:71], v[84:85]
	v_mul_f64 v[186:187], v[34:35], v[84:85]
	;; [unrolled: 1-line block ×9, first 2 shown]
	v_fma_f64 v[126:127], v[166:167], v[96:97], -v[119:120]
	v_fma_f64 v[136:137], v[36:37], v[64:65], v[121:122]
	v_fma_f64 v[112:113], v[72:73], v[64:65], -v[123:124]
	v_fma_f64 v[120:121], v[90:91], v[96:97], -v[190:191]
	v_fma_f64 v[114:115], v[38:39], v[64:65], v[192:193]
	v_fma_f64 v[84:85], v[74:75], v[64:65], -v[194:195]
	v_fma_f64 v[98:99], v[20:21], v[64:65], v[208:209]
	v_fma_f64 v[74:75], v[172:173], v[64:65], -v[210:211]
	v_fma_f64 v[90:91], v[16:17], v[78:79], v[212:213]
	v_add_f64 v[16:17], v[142:143], v[144:145]
	v_fma_f64 v[102:103], v[12:13], v[96:97], v[220:221]
	v_fma_f64 v[12:13], v[174:175], v[64:65], -v[226:227]
	v_fma_f64 v[72:73], v[18:19], v[78:79], v[228:229]
	v_fma_f64 v[64:65], v[178:179], v[78:79], -v[80:81]
	v_add_f64 v[18:19], v[134:135], -v[130:131]
	v_fma_f64 v[80:81], v[8:9], v[82:83], v[230:231]
	v_add_f64 v[8:9], v[22:23], v[24:25]
	v_fma_f64 v[22:23], v[26:27], -0.5, v[50:51]
	v_fma_f64 v[124:125], v[40:41], v[78:79], v[128:129]
	v_fma_f64 v[116:117], v[86:87], v[78:79], -v[138:139]
	v_fma_f64 v[128:129], v[34:35], v[82:83], v[184:185]
	v_fma_f64 v[138:139], v[28:29], v[96:97], v[188:189]
	;; [unrolled: 1-line block ×3, first 2 shown]
	v_add_f64 v[20:21], v[140:141], -v[126:127]
	v_fma_f64 v[16:17], v[16:17], -0.5, v[50:51]
	v_fma_f64 v[30:31], v[18:19], s[10:11], v[22:23]
	v_add_f64 v[32:33], v[142:143], -v[146:147]
	v_add_f64 v[34:35], v[144:145], -v[148:149]
	v_fma_f64 v[22:23], v[18:19], s[4:5], v[22:23]
	v_fma_f64 v[118:119], v[70:71], v[82:83], -v[186:187]
	v_fma_f64 v[106:107], v[42:43], v[78:79], v[196:197]
	v_add_f64 v[10:11], v[50:51], v[146:147]
	v_fma_f64 v[28:29], v[20:21], s[4:5], v[16:17]
	v_fma_f64 v[16:17], v[20:21], s[10:11], v[16:17]
	;; [unrolled: 1-line block ×3, first 2 shown]
	v_add_f64 v[32:33], v[32:33], v[34:35]
	v_fma_f64 v[20:21], v[20:21], s[16:17], v[22:23]
	v_add_f64 v[22:23], v[136:137], v[138:139]
	v_add_f64 v[34:35], v[116:117], -v[118:119]
	v_add_f64 v[26:27], v[48:49], v[136:137]
	v_fma_f64 v[24:25], v[18:19], s[2:3], v[28:29]
	v_add_f64 v[28:29], v[124:125], v[128:129]
	v_fma_f64 v[16:17], v[18:19], s[16:17], v[16:17]
	v_fma_f64 v[30:31], v[32:33], s[6:7], v[30:31]
	;; [unrolled: 1-line block ×3, first 2 shown]
	v_fma_f64 v[20:21], v[22:23], -0.5, v[48:49]
	v_add_f64 v[22:23], v[136:137], -v[124:125]
	v_add_f64 v[36:37], v[138:139], -v[128:129]
	v_add_f64 v[40:41], v[106:107], v[110:111]
	v_fma_f64 v[18:19], v[28:29], -0.5, v[48:49]
	v_add_f64 v[28:29], v[112:113], -v[120:121]
	v_add_f64 v[48:49], v[124:125], -v[136:137]
	v_add_f64 v[50:51], v[128:129], -v[138:139]
	v_fma_f64 v[42:43], v[34:35], s[10:11], v[20:21]
	v_fma_f64 v[20:21], v[34:35], s[4:5], v[20:21]
	v_fma_f64 v[86:87], v[88:89], v[78:79], -v[198:199]
	v_fma_f64 v[88:89], v[168:169], v[82:83], -v[202:203]
	;; [unrolled: 1-line block ×3, first 2 shown]
	v_fma_f64 v[24:25], v[8:9], s[6:7], v[24:25]
	v_fma_f64 v[8:9], v[8:9], s[6:7], v[16:17]
	;; [unrolled: 1-line block ×4, first 2 shown]
	v_add_f64 v[38:39], v[46:47], v[114:115]
	v_add_f64 v[22:23], v[22:23], v[36:37]
	v_fma_f64 v[36:37], v[40:41], -0.5, v[46:47]
	v_fma_f64 v[40:41], v[28:29], s[2:3], v[42:43]
	v_add_f64 v[42:43], v[48:49], v[50:51]
	v_fma_f64 v[20:21], v[28:29], s[16:17], v[20:21]
	v_add_f64 v[28:29], v[114:115], v[122:123]
	v_fma_f64 v[16:17], v[34:35], s[2:3], v[16:17]
	v_fma_f64 v[18:19], v[34:35], s[16:17], v[18:19]
	v_add_f64 v[34:35], v[38:39], v[106:107]
	v_add_f64 v[38:39], v[84:85], -v[92:93]
	v_add_f64 v[48:49], v[86:87], -v[88:89]
	v_fma_f64 v[40:41], v[42:43], s[6:7], v[40:41]
	v_add_f64 v[52:53], v[114:115], -v[106:107]
	v_add_f64 v[54:55], v[122:123], -v[110:111]
	v_fma_f64 v[42:43], v[42:43], s[6:7], v[20:21]
	v_fma_f64 v[20:21], v[28:29], -0.5, v[46:47]
	v_fma_f64 v[76:77], v[176:177], v[78:79], -v[214:215]
	v_fma_f64 v[66:67], v[170:171], v[82:83], -v[218:219]
	;; [unrolled: 1-line block ×4, first 2 shown]
	v_fma_f64 v[82:83], v[14:15], v[96:97], v[234:235]
	v_fma_f64 v[14:15], v[182:183], v[96:97], -v[236:237]
	v_fma_f64 v[16:17], v[22:23], s[6:7], v[16:17]
	v_fma_f64 v[18:19], v[22:23], s[6:7], v[18:19]
	v_add_f64 v[22:23], v[34:35], v[110:111]
	v_fma_f64 v[34:35], v[38:39], s[4:5], v[36:37]
	v_add_f64 v[50:51], v[90:91], v[94:95]
	v_add_f64 v[52:53], v[52:53], v[54:55]
	v_fma_f64 v[36:37], v[38:39], s[10:11], v[36:37]
	v_fma_f64 v[54:55], v[48:49], s[10:11], v[20:21]
	v_add_f64 v[96:97], v[106:107], -v[114:115]
	v_add_f64 v[164:165], v[110:111], -v[122:123]
	v_fma_f64 v[20:21], v[48:49], s[4:5], v[20:21]
	v_add_f64 v[28:29], v[22:23], v[122:123]
	v_fma_f64 v[22:23], v[48:49], s[2:3], v[34:35]
	v_fma_f64 v[46:47], v[50:51], -0.5, v[44:45]
	v_add_f64 v[50:51], v[74:75], -v[70:71]
	v_add_f64 v[170:171], v[98:99], -v[90:91]
	;; [unrolled: 1-line block ×3, first 2 shown]
	v_fma_f64 v[36:37], v[48:49], s[16:17], v[36:37]
	v_add_f64 v[48:49], v[98:99], v[102:103]
	v_add_f64 v[96:97], v[96:97], v[164:165]
	v_fma_f64 v[20:21], v[38:39], s[16:17], v[20:21]
	v_fma_f64 v[54:55], v[38:39], s[2:3], v[54:55]
	;; [unrolled: 1-line block ×3, first 2 shown]
	v_add_f64 v[168:169], v[76:77], -v[66:67]
	v_add_f64 v[164:165], v[170:171], v[172:173]
	v_fma_f64 v[170:171], v[52:53], s[6:7], v[22:23]
	v_fma_f64 v[22:23], v[48:49], -0.5, v[44:45]
	v_add_f64 v[10:11], v[10:11], v[142:143]
	v_fma_f64 v[48:49], v[96:97], s[6:7], v[20:21]
	v_add_f64 v[20:21], v[72:73], v[80:81]
	v_fma_f64 v[46:47], v[50:51], s[10:11], v[46:47]
	;; [unrolled: 2-line block ×4, first 2 shown]
	v_add_f64 v[54:55], v[90:91], -v[98:99]
	v_add_f64 v[166:167], v[94:95], -v[102:103]
	v_add_f64 v[172:173], v[0:1], v[68:69]
	v_fma_f64 v[20:21], v[20:21], -0.5, v[0:1]
	v_add_f64 v[174:175], v[12:13], -v[14:15]
	v_add_f64 v[10:11], v[10:11], v[144:145]
	v_fma_f64 v[46:47], v[168:169], s[16:17], v[46:47]
	v_add_f64 v[176:177], v[64:65], -v[78:79]
	v_fma_f64 v[0:1], v[96:97], -0.5, v[0:1]
	v_fma_f64 v[36:37], v[52:53], s[6:7], v[36:37]
	v_fma_f64 v[52:53], v[168:169], s[10:11], v[22:23]
	v_add_f64 v[54:55], v[54:55], v[166:167]
	v_fma_f64 v[22:23], v[168:169], s[4:5], v[22:23]
	v_add_f64 v[96:97], v[172:173], v[72:73]
	v_fma_f64 v[166:167], v[174:175], s[4:5], v[20:21]
	v_add_f64 v[168:169], v[68:69], -v[72:73]
	v_add_f64 v[172:173], v[82:83], -v[80:81]
	v_fma_f64 v[20:21], v[174:175], s[10:11], v[20:21]
	v_add_f64 v[10:11], v[10:11], v[148:149]
	v_lshrrev_b32_e32 v109, 3, v150
	v_mul_u32_u24_e32 v109, 40, v109
	v_or_b32_e32 v109, v109, v108
	v_fma_f64 v[38:39], v[164:165], s[6:7], v[38:39]
	v_fma_f64 v[46:47], v[164:165], s[6:7], v[46:47]
	v_lshl_add_u32 v164, v109, 3, 0
	v_lshrrev_b32_e32 v109, 3, v154
	v_add_f64 v[26:27], v[26:27], v[124:125]
	v_add_f64 v[34:35], v[34:35], v[90:91]
	v_mul_lo_u32 v109, v109, 40
	v_fma_f64 v[178:179], v[176:177], s[10:11], v[0:1]
	v_add_f64 v[180:181], v[72:73], -v[68:69]
	v_add_f64 v[182:183], v[80:81], -v[82:83]
	v_fma_f64 v[0:1], v[176:177], s[4:5], v[0:1]
	v_fma_f64 v[52:53], v[50:51], s[2:3], v[52:53]
	;; [unrolled: 1-line block ×3, first 2 shown]
	v_add_f64 v[50:51], v[96:97], v[80:81]
	v_fma_f64 v[96:97], v[176:177], s[2:3], v[166:167]
	v_add_f64 v[166:167], v[168:169], v[172:173]
	v_fma_f64 v[20:21], v[176:177], s[16:17], v[20:21]
	ds_write2_b64 v164, v[10:11], v[24:25] offset1:8
	ds_write2_b64 v164, v[30:31], v[32:33] offset0:16 offset1:24
	ds_write_b64 v164, v[8:9] offset:256
	v_or_b32_e32 v8, v109, v108
	v_lshl_add_u32 v165, v8, 3, 0
	v_lshrrev_b32_e32 v8, 3, v152
	v_mul_lo_u32 v8, v8, 40
	v_add_f64 v[26:27], v[26:27], v[128:129]
	v_add_f64 v[34:35], v[34:35], v[94:95]
	v_fma_f64 v[168:169], v[174:175], s[2:3], v[178:179]
	v_add_f64 v[172:173], v[180:181], v[182:183]
	v_fma_f64 v[174:175], v[174:175], s[16:17], v[0:1]
	v_or_b32_e32 v8, v8, v108
	v_fma_f64 v[96:97], v[166:167], s[6:7], v[96:97]
	v_fma_f64 v[0:1], v[166:167], s[6:7], v[20:21]
	v_lshl_add_u32 v166, v8, 3, 0
	v_lshrrev_b32_e32 v8, 3, v155
	v_mul_lo_u32 v8, v8, 40
	v_add_f64 v[26:27], v[26:27], v[138:139]
	v_add_f64 v[34:35], v[34:35], v[102:103]
	v_add_f64 v[50:51], v[50:51], v[82:83]
	v_or_b32_e32 v8, v8, v108
	v_fma_f64 v[52:53], v[54:55], s[6:7], v[52:53]
	v_fma_f64 v[54:55], v[54:55], s[6:7], v[22:23]
	;; [unrolled: 1-line block ×4, first 2 shown]
	v_lshl_add_u32 v167, v8, 3, 0
	v_lshrrev_b32_e32 v8, 3, v156
	v_mul_lo_u32 v8, v8, 40
	ds_write2_b64 v165, v[26:27], v[16:17] offset1:8
	ds_write2_b64 v165, v[40:41], v[42:43] offset0:16 offset1:24
	ds_write_b64 v165, v[18:19] offset:256
	ds_write2_b64 v166, v[28:29], v[170:171] offset1:8
	ds_write2_b64 v166, v[44:45], v[48:49] offset0:16 offset1:24
	ds_write_b64 v166, v[36:37] offset:256
	;; [unrolled: 3-line block ×3, first 2 shown]
	v_or_b32_e32 v8, v8, v108
	v_lshl_add_u32 v168, v8, 3, 0
	ds_write2_b64 v168, v[50:51], v[96:97] offset1:8
	ds_write2_b64 v168, v[20:21], v[22:23] offset0:16 offset1:24
	ds_write_b64 v168, v[0:1] offset:256
	s_waitcnt lgkmcnt(0)
	; wave barrier
	s_waitcnt lgkmcnt(0)
	ds_read2_b64 v[16:19], v157 offset1:200
	ds_read2_b64 v[52:55], v104 offset0:144 offset1:200
	ds_read2_b64 v[32:35], v105 offset1:88
	ds_read2_b64 v[48:51], v101 offset0:32 offset1:88
	ds_read2_b64 v[24:27], v101 offset0:144 offset1:232
	;; [unrolled: 1-line block ×3, first 2 shown]
	ds_read2_b64 v[40:43], v104 offset1:56
	ds_read2_b64 v[36:39], v105 offset0:144 offset1:200
	ds_read2_b64 v[28:31], v100 offset0:32 offset1:88
	ds_read_b64 v[100:101], v159
	ds_read_b64 v[104:105], v158
	ds_read_b64 v[108:109], v157 offset:10496
                                        ; implicit-def: $vgpr10_vgpr11
	s_and_saveexec_b64 s[18:19], s[0:1]
	s_cbranch_execz .LBB0_37
; %bb.36:
	v_add_u32_e32 v0, 0xa00, v157
	ds_read2_b64 v[20:23], v0 offset0:48 offset1:248
	v_add_u32_e32 v0, 0x1800, v157
	v_add_u32_e32 v8, 0x2400, v157
	ds_read_b64 v[96:97], v160
	ds_read2_b64 v[0:3], v0 offset1:200
	ds_read2_b64 v[8:11], v8 offset0:16 offset1:216
.LBB0_37:
	s_or_b64 exec, exec, s[18:19]
	v_add_f64 v[169:170], v[134:135], v[130:131]
	v_add_f64 v[146:147], v[146:147], -v[148:149]
	v_add_f64 v[148:149], v[140:141], v[126:127]
	v_add_f64 v[171:172], v[62:63], v[140:141]
	v_add_f64 v[142:143], v[142:143], -v[144:145]
	v_add_f64 v[144:145], v[140:141], -v[134:135]
	;; [unrolled: 1-line block ×3, first 2 shown]
	v_add_f64 v[177:178], v[60:61], v[112:113]
	v_fma_f64 v[169:170], v[169:170], -0.5, v[62:63]
	v_add_f64 v[140:141], v[134:135], -v[140:141]
	v_fma_f64 v[62:63], v[148:149], -0.5, v[62:63]
	v_add_f64 v[175:176], v[130:131], -v[126:127]
	v_add_f64 v[148:149], v[116:117], v[118:119]
	v_add_f64 v[136:137], v[136:137], -v[138:139]
	v_add_f64 v[134:135], v[171:172], v[134:135]
	v_add_f64 v[171:172], v[112:113], v[120:121]
	v_fma_f64 v[138:139], v[146:147], s[10:11], v[169:170]
	v_fma_f64 v[169:170], v[146:147], s[4:5], v[169:170]
	v_add_f64 v[144:145], v[144:145], v[173:174]
	v_fma_f64 v[173:174], v[142:143], s[4:5], v[62:63]
	v_fma_f64 v[62:63], v[142:143], s[10:11], v[62:63]
	v_add_f64 v[177:178], v[177:178], v[116:117]
	v_add_f64 v[130:131], v[134:135], v[130:131]
	;; [unrolled: 1-line block ×3, first 2 shown]
	v_fma_f64 v[134:135], v[142:143], s[16:17], v[138:139]
	v_fma_f64 v[138:139], v[142:143], s[2:3], v[169:170]
	v_fma_f64 v[142:143], v[148:149], -0.5, v[60:61]
	v_fma_f64 v[148:149], v[146:147], s[16:17], v[173:174]
	v_fma_f64 v[62:63], v[146:147], s[2:3], v[62:63]
	v_add_f64 v[146:147], v[177:178], v[118:119]
	v_add_f64 v[124:125], v[124:125], -v[128:129]
	v_fma_f64 v[60:61], v[171:172], -0.5, v[60:61]
	v_add_f64 v[126:127], v[130:131], v[126:127]
	v_fma_f64 v[130:131], v[144:145], s[6:7], v[134:135]
	v_fma_f64 v[134:135], v[144:145], s[6:7], v[138:139]
	;; [unrolled: 1-line block ×5, first 2 shown]
	v_add_f64 v[144:145], v[146:147], v[120:121]
	v_add_f64 v[62:63], v[112:113], -v[116:117]
	v_add_f64 v[146:147], v[120:121], -v[118:119]
	v_fma_f64 v[142:143], v[136:137], s[4:5], v[142:143]
	v_add_f64 v[148:149], v[58:59], v[84:85]
	v_fma_f64 v[171:172], v[124:125], s[4:5], v[60:61]
	v_add_f64 v[112:113], v[116:117], -v[112:113]
	v_add_f64 v[116:117], v[118:119], -v[120:121]
	v_fma_f64 v[138:139], v[124:125], s[16:17], v[138:139]
	v_add_f64 v[169:170], v[86:87], v[88:89]
	v_add_f64 v[62:63], v[62:63], v[146:147]
	v_fma_f64 v[118:119], v[124:125], s[2:3], v[142:143]
	v_add_f64 v[120:121], v[148:149], v[86:87]
	v_add_f64 v[114:115], v[114:115], -v[122:123]
	v_fma_f64 v[122:123], v[136:137], s[16:17], v[171:172]
	v_add_f64 v[112:113], v[112:113], v[116:117]
	v_fma_f64 v[60:61], v[124:125], s[10:11], v[60:61]
	v_fma_f64 v[124:125], v[169:170], -0.5, v[58:59]
	v_fma_f64 v[116:117], v[62:63], s[6:7], v[138:139]
	v_fma_f64 v[118:119], v[62:63], s[6:7], v[118:119]
	v_add_f64 v[62:63], v[120:121], v[88:89]
	v_add_f64 v[120:121], v[84:85], v[92:93]
	v_add_f64 v[106:107], v[106:107], -v[110:111]
	v_fma_f64 v[110:111], v[112:113], s[6:7], v[122:123]
	v_add_f64 v[122:123], v[76:77], v[66:67]
	v_fma_f64 v[60:61], v[136:137], s[2:3], v[60:61]
	v_fma_f64 v[136:137], v[114:115], s[10:11], v[124:125]
	v_add_f64 v[138:139], v[84:85], -v[86:87]
	v_add_f64 v[142:143], v[92:93], -v[88:89]
	v_fma_f64 v[58:59], v[120:121], -0.5, v[58:59]
	v_add_f64 v[120:121], v[62:63], v[92:93]
	v_add_f64 v[62:63], v[56:57], v[74:75]
	v_fma_f64 v[122:123], v[122:123], -0.5, v[56:57]
	v_add_f64 v[98:99], v[98:99], -v[102:103]
	v_fma_f64 v[124:125], v[114:115], s[4:5], v[124:125]
	v_fma_f64 v[112:113], v[112:113], s[6:7], v[60:61]
	;; [unrolled: 1-line block ×3, first 2 shown]
	v_add_f64 v[102:103], v[138:139], v[142:143]
	v_fma_f64 v[136:137], v[106:107], s[4:5], v[58:59]
	v_add_f64 v[84:85], v[86:87], -v[84:85]
	v_add_f64 v[86:87], v[88:89], -v[92:93]
	v_fma_f64 v[58:59], v[106:107], s[10:11], v[58:59]
	v_add_f64 v[62:63], v[62:63], v[76:77]
	v_fma_f64 v[88:89], v[98:99], s[10:11], v[122:123]
	v_add_f64 v[90:91], v[90:91], -v[94:95]
	v_add_f64 v[92:93], v[74:75], -v[76:77]
	;; [unrolled: 1-line block ×3, first 2 shown]
	v_fma_f64 v[106:107], v[106:107], s[2:3], v[124:125]
	v_add_f64 v[124:125], v[74:75], v[70:71]
	v_fma_f64 v[136:137], v[114:115], s[16:17], v[136:137]
	v_add_f64 v[84:85], v[84:85], v[86:87]
	;; [unrolled: 2-line block ×5, first 2 shown]
	v_add_f64 v[74:75], v[76:77], -v[74:75]
	v_add_f64 v[76:77], v[12:13], v[14:15]
	v_fma_f64 v[56:57], v[124:125], -0.5, v[56:57]
	v_fma_f64 v[94:95], v[102:103], s[6:7], v[106:107]
	v_fma_f64 v[102:103], v[84:85], s[6:7], v[136:137]
	;; [unrolled: 1-line block ×3, first 2 shown]
	v_add_f64 v[84:85], v[62:63], v[70:71]
	v_fma_f64 v[62:63], v[98:99], s[4:5], v[122:123]
	v_add_f64 v[66:67], v[66:67], -v[70:71]
	v_add_f64 v[70:71], v[4:5], v[12:13]
	v_fma_f64 v[60:61], v[60:61], -0.5, v[4:5]
	v_add_f64 v[68:69], v[68:69], -v[82:83]
	v_add_f64 v[72:73], v[72:73], -v[80:81]
	v_fma_f64 v[4:5], v[76:77], -0.5, v[4:5]
	v_fma_f64 v[106:107], v[90:91], s[4:5], v[56:57]
	v_fma_f64 v[56:57], v[90:91], s[10:11], v[56:57]
	;; [unrolled: 1-line block ×3, first 2 shown]
	v_add_f64 v[66:67], v[74:75], v[66:67]
	v_add_f64 v[70:71], v[70:71], v[64:65]
	v_fma_f64 v[74:75], v[68:69], s[10:11], v[60:61]
	v_add_f64 v[76:77], v[12:13], -v[64:65]
	v_add_f64 v[80:81], v[14:15], -v[78:79]
	v_fma_f64 v[60:61], v[68:69], s[4:5], v[60:61]
	v_fma_f64 v[90:91], v[72:73], s[4:5], v[4:5]
	v_add_f64 v[12:13], v[64:65], -v[12:13]
	v_add_f64 v[64:65], v[78:79], -v[14:15]
	v_fma_f64 v[4:5], v[72:73], s[10:11], v[4:5]
	v_fma_f64 v[56:57], v[98:99], s[2:3], v[56:57]
	;; [unrolled: 1-line block ×3, first 2 shown]
	v_add_f64 v[70:71], v[70:71], v[78:79]
	v_fma_f64 v[74:75], v[72:73], s[16:17], v[74:75]
	v_add_f64 v[76:77], v[76:77], v[80:81]
	v_fma_f64 v[60:61], v[72:73], s[2:3], v[60:61]
	v_fma_f64 v[72:73], v[68:69], s[16:17], v[90:91]
	v_add_f64 v[12:13], v[12:13], v[64:65]
	v_fma_f64 v[64:65], v[68:69], s[2:3], v[4:5]
	v_fma_f64 v[56:57], v[66:67], s[6:7], v[56:57]
	;; [unrolled: 1-line block ×5, first 2 shown]
	v_add_f64 v[14:15], v[70:71], v[14:15]
	v_fma_f64 v[98:99], v[76:77], s[6:7], v[74:75]
	v_fma_f64 v[4:5], v[76:77], s[6:7], v[60:61]
	;; [unrolled: 1-line block ×4, first 2 shown]
	s_waitcnt lgkmcnt(0)
	; wave barrier
	s_waitcnt lgkmcnt(0)
	ds_write2_b64 v164, v[126:127], v[130:131] offset1:8
	ds_write2_b64 v164, v[128:129], v[140:141] offset0:16 offset1:24
	ds_write_b64 v164, v[134:135] offset:256
	ds_write2_b64 v165, v[144:145], v[116:117] offset1:8
	ds_write2_b64 v165, v[110:111], v[112:113] offset0:16 offset1:24
	ds_write_b64 v165, v[118:119] offset:256
	;; [unrolled: 3-line block ×5, first 2 shown]
	v_add_u32_e32 v57, 0x800, v157
	v_add_u32_e32 v58, 0x1000, v157
	;; [unrolled: 1-line block ×4, first 2 shown]
	s_waitcnt lgkmcnt(0)
	; wave barrier
	s_waitcnt lgkmcnt(0)
	ds_read2_b64 v[12:15], v157 offset1:200
	ds_read2_b64 v[92:95], v57 offset0:144 offset1:200
	ds_read2_b64 v[72:75], v58 offset1:88
	ds_read2_b64 v[88:91], v56 offset0:32 offset1:88
	ds_read2_b64 v[64:67], v56 offset0:144 offset1:232
	;; [unrolled: 1-line block ×3, first 2 shown]
	ds_read2_b64 v[80:83], v57 offset1:56
	ds_read2_b64 v[76:79], v58 offset0:144 offset1:200
	ds_read2_b64 v[68:71], v59 offset0:32 offset1:88
	ds_read_b64 v[102:103], v159
	ds_read_b64 v[106:107], v158
	ds_read_b64 v[112:113], v157 offset:10496
                                        ; implicit-def: $vgpr58_vgpr59
	s_and_saveexec_b64 s[2:3], s[0:1]
	s_cbranch_execz .LBB0_39
; %bb.38:
	v_add_u32_e32 v4, 0xa00, v157
	ds_read_b64 v[98:99], v160
	ds_read2_b64 v[60:63], v4 offset0:48 offset1:248
	ds_read2_b64 v[4:7], v56 offset1:200
	v_add_u32_e32 v56, 0x2400, v157
	ds_read2_b64 v[56:59], v56 offset0:16 offset1:216
.LBB0_39:
	s_or_b64 exec, exec, s[2:3]
	v_subrev_u32_e32 v110, 40, v150
	v_cmp_gt_u32_e64 s[2:3], 40, v150
	v_cndmask_b32_e64 v144, v110, v150, s[2:3]
	v_mul_i32_i24_e32 v110, 6, v144
	v_mov_b32_e32 v111, 0
	v_lshlrev_b64 v[110:111], 4, v[110:111]
	v_mov_b32_e32 v114, s9
	v_add_co_u32_e64 v110, s[2:3], s8, v110
	v_addc_co_u32_e64 v111, s[2:3], v114, v111, s[2:3]
	s_movk_i32 s2, 0xcd
	global_load_dwordx4 v[114:117], v[110:111], off offset:624
	global_load_dwordx4 v[120:123], v[110:111], off offset:608
	;; [unrolled: 1-line block ×6, first 2 shown]
	v_mul_lo_u16_sdwa v110, v154, s2 dst_sel:DWORD dst_unused:UNUSED_PAD src0_sel:BYTE_0 src1_sel:DWORD
	v_lshrrev_b16_e32 v145, 13, v110
	v_mul_lo_u16_e32 v110, 40, v145
	v_sub_u16_e32 v146, v154, v110
	v_mov_b32_e32 v110, 6
	v_mul_u32_u24_sdwa v111, v146, v110 dst_sel:DWORD dst_unused:UNUSED_PAD src0_sel:BYTE_0 src1_sel:DWORD
	v_lshlrev_b32_e32 v111, 4, v111
	global_load_dwordx4 v[168:171], v111, s[8:9] offset:608
	global_load_dwordx4 v[172:175], v111, s[8:9] offset:624
	;; [unrolled: 1-line block ×6, first 2 shown]
	v_mul_lo_u16_sdwa v111, v152, s2 dst_sel:DWORD dst_unused:UNUSED_PAD src0_sel:BYTE_0 src1_sel:DWORD
	v_lshrrev_b16_e32 v147, 13, v111
	v_mul_lo_u16_e32 v111, 40, v147
	v_sub_u16_e32 v148, v152, v111
	v_mul_u32_u24_sdwa v110, v148, v110 dst_sel:DWORD dst_unused:UNUSED_PAD src0_sel:BYTE_0 src1_sel:DWORD
	v_lshlrev_b32_e32 v110, 4, v110
	global_load_dwordx4 v[192:195], v110, s[8:9] offset:608
	global_load_dwordx4 v[196:199], v110, s[8:9] offset:624
	;; [unrolled: 1-line block ×5, first 2 shown]
	v_mul_lo_u16_sdwa v111, v155, s2 dst_sel:DWORD dst_unused:UNUSED_PAD src0_sel:BYTE_0 src1_sel:DWORD
	v_lshrrev_b16_e32 v111, 13, v111
	v_mul_lo_u16_e32 v111, 40, v111
	v_sub_u16_e32 v111, v155, v111
	global_load_dwordx4 v[212:215], v110, s[8:9] offset:688
	v_and_b32_e32 v149, 0xff, v111
	v_mul_u32_u24_e32 v110, 6, v149
	v_lshlrev_b32_e32 v110, 4, v110
	global_load_dwordx4 v[216:219], v110, s[8:9] offset:608
	global_load_dwordx4 v[220:223], v110, s[8:9] offset:624
	;; [unrolled: 1-line block ×6, first 2 shown]
	s_mov_b32 s6, 0x37e14327
	s_mov_b32 s4, 0x36b3c0b5
	;; [unrolled: 1-line block ×20, first 2 shown]
	v_cmp_lt_u32_e64 s[2:3], 39, v150
	s_waitcnt lgkmcnt(0)
	; wave barrier
	s_waitcnt vmcnt(23) lgkmcnt(0)
	v_mul_f64 v[124:125], v[92:93], v[116:117]
	s_waitcnt vmcnt(22)
	v_mul_f64 v[110:111], v[14:15], v[122:123]
	v_mul_f64 v[122:123], v[18:19], v[122:123]
	s_waitcnt vmcnt(20)
	v_mul_f64 v[138:139], v[74:75], v[130:131]
	;; [unrolled: 3-line block ×3, first 2 shown]
	v_mul_f64 v[130:131], v[34:35], v[130:131]
	v_mul_f64 v[240:241], v[88:89], v[136:137]
	;; [unrolled: 1-line block ×6, first 2 shown]
	s_waitcnt vmcnt(17)
	v_mul_f64 v[246:247], v[80:81], v[170:171]
	s_waitcnt vmcnt(16)
	v_mul_f64 v[248:249], v[94:95], v[174:175]
	v_mul_f64 v[174:175], v[54:55], v[174:175]
	s_waitcnt vmcnt(15)
	v_mul_f64 v[250:251], v[76:77], v[178:179]
	s_waitcnt vmcnt(14)
	v_mul_f64 v[252:253], v[90:91], v[182:183]
	v_mul_f64 v[182:183], v[50:51], v[182:183]
	s_waitcnt vmcnt(13)
	v_mul_f64 v[254:255], v[68:69], v[186:187]
	v_fma_f64 v[118:119], v[18:19], v[120:121], v[110:111]
	v_fma_f64 v[120:121], v[14:15], v[120:121], -v[122:123]
	v_mul_f64 v[14:15], v[28:29], v[186:187]
	s_waitcnt vmcnt(12)
	v_mul_f64 v[18:19], v[86:87], v[190:191]
	v_fma_f64 v[122:123], v[52:53], v[114:115], v[124:125]
	v_fma_f64 v[124:125], v[34:35], v[128:129], v[138:139]
	;; [unrolled: 1-line block ×3, first 2 shown]
	v_mul_f64 v[26:27], v[46:47], v[190:191]
	s_waitcnt vmcnt(11)
	v_mul_f64 v[34:35], v[82:83], v[194:195]
	v_mul_f64 v[170:171], v[40:41], v[170:171]
	;; [unrolled: 1-line block ×3, first 2 shown]
	v_fma_f64 v[126:127], v[92:93], v[114:115], -v[116:117]
	v_fma_f64 v[128:129], v[74:75], v[128:129], -v[130:131]
	v_fma_f64 v[130:131], v[48:49], v[134:135], v[240:241]
	v_fma_f64 v[134:135], v[88:89], v[134:135], -v[136:137]
	v_fma_f64 v[140:141], v[66:67], v[140:141], -v[142:143]
	;; [unrolled: 1-line block ×3, first 2 shown]
	v_fma_f64 v[74:75], v[40:41], v[168:169], v[246:247]
	v_fma_f64 v[110:111], v[94:95], v[172:173], -v[174:175]
	v_fma_f64 v[84:85], v[36:37], v[176:177], v[250:251]
	v_fma_f64 v[94:95], v[90:91], v[180:181], -v[182:183]
	;; [unrolled: 2-line block ×3, first 2 shown]
	v_fma_f64 v[90:91], v[46:47], v[188:189], v[18:19]
	v_mul_f64 v[18:19], v[42:43], v[194:195]
	s_waitcnt vmcnt(10)
	v_mul_f64 v[28:29], v[72:73], v[198:199]
	v_fma_f64 v[86:87], v[86:87], v[188:189], -v[26:27]
	v_fma_f64 v[14:15], v[42:43], v[192:193], v[34:35]
	v_mul_f64 v[26:27], v[32:33], v[198:199]
	s_waitcnt vmcnt(9)
	v_mul_f64 v[36:37], v[78:79], v[202:203]
	v_mul_f64 v[40:41], v[38:39], v[202:203]
	s_waitcnt vmcnt(8)
	v_mul_f64 v[42:43], v[64:65], v[206:207]
	v_fma_f64 v[136:137], v[44:45], v[164:165], v[244:245]
	v_fma_f64 v[34:35], v[82:83], v[192:193], -v[18:19]
	v_fma_f64 v[18:19], v[32:33], v[196:197], v[28:29]
	v_mul_f64 v[32:33], v[24:25], v[206:207]
	s_waitcnt vmcnt(7)
	v_mul_f64 v[44:45], v[70:71], v[210:211]
	v_fma_f64 v[66:67], v[72:73], v[196:197], -v[26:27]
	v_fma_f64 v[26:27], v[38:39], v[200:201], v[36:37]
	v_fma_f64 v[28:29], v[78:79], v[200:201], -v[40:41]
	v_fma_f64 v[24:25], v[24:25], v[204:205], v[42:43]
	v_mul_f64 v[36:37], v[30:31], v[210:211]
	s_waitcnt vmcnt(6)
	v_mul_f64 v[38:39], v[112:113], v[214:215]
	v_mul_f64 v[40:41], v[108:109], v[214:215]
	s_waitcnt vmcnt(5)
	v_mul_f64 v[42:43], v[60:61], v[218:219]
	;; [unrolled: 3-line block ×3, first 2 shown]
	s_waitcnt vmcnt(3)
	v_mul_f64 v[52:53], v[4:5], v[226:227]
	v_fma_f64 v[92:93], v[76:77], v[176:177], -v[178:179]
	v_fma_f64 v[76:77], v[50:51], v[180:181], v[252:253]
	v_fma_f64 v[32:33], v[64:65], v[204:205], -v[32:33]
	v_fma_f64 v[30:31], v[30:31], v[208:209], v[44:45]
	;; [unrolled: 2-line block ×3, first 2 shown]
	v_mul_f64 v[50:51], v[22:23], v[222:223]
	v_fma_f64 v[68:69], v[112:113], v[212:213], -v[40:41]
	v_fma_f64 v[36:37], v[20:21], v[216:217], v[42:43]
	v_fma_f64 v[42:43], v[60:61], v[216:217], -v[46:47]
	v_fma_f64 v[38:39], v[22:23], v[220:221], v[48:49]
	v_mul_f64 v[20:21], v[0:1], v[226:227]
	s_waitcnt vmcnt(2)
	v_mul_f64 v[22:23], v[6:7], v[230:231]
	v_fma_f64 v[40:41], v[0:1], v[224:225], v[52:53]
	v_add_f64 v[0:1], v[118:119], v[136:137]
	v_add_f64 v[60:61], v[122:123], v[138:139]
	v_fma_f64 v[46:47], v[62:63], v[220:221], -v[50:51]
	v_mul_f64 v[52:53], v[2:3], v[230:231]
	v_add_f64 v[62:63], v[120:121], -v[142:143]
	v_fma_f64 v[48:49], v[4:5], v[224:225], -v[20:21]
	v_fma_f64 v[50:51], v[2:3], v[228:229], v[22:23]
	v_add_f64 v[2:3], v[126:127], -v[140:141]
	v_add_f64 v[4:5], v[124:125], v[130:131]
	v_add_f64 v[20:21], v[134:135], -v[128:129]
	v_add_f64 v[22:23], v[60:61], v[0:1]
	v_add_f64 v[78:79], v[60:61], -v[0:1]
	v_fma_f64 v[114:115], v[80:81], v[168:169], -v[170:171]
	v_fma_f64 v[80:81], v[54:55], v[172:173], v[248:249]
	s_waitcnt vmcnt(0)
	v_mul_f64 v[54:55], v[56:57], v[238:239]
	v_fma_f64 v[52:53], v[6:7], v[228:229], -v[52:53]
	v_add_f64 v[0:1], v[0:1], -v[4:5]
	v_add_f64 v[72:73], v[20:21], v[2:3]
	v_add_f64 v[22:23], v[4:5], v[22:23]
	v_add_f64 v[4:5], v[4:5], -v[60:61]
	v_add_f64 v[60:61], v[20:21], -v[2:3]
	;; [unrolled: 1-line block ×4, first 2 shown]
	v_fma_f64 v[54:55], v[8:9], v[236:237], v[54:55]
	v_mul_f64 v[0:1], v[0:1], s[6:7]
	v_add_f64 v[62:63], v[72:73], v[62:63]
	v_add_f64 v[16:17], v[16:17], v[22:23]
	v_mul_f64 v[72:73], v[4:5], s[4:5]
	v_mul_f64 v[60:61], v[60:61], s[16:17]
	;; [unrolled: 1-line block ×5, first 2 shown]
	v_fma_f64 v[4:5], v[4:5], s[4:5], v[0:1]
	v_fma_f64 v[0:1], v[78:79], s[22:23], -v[0:1]
	v_fma_f64 v[22:23], v[22:23], s[18:19], v[16:17]
	v_fma_f64 v[72:73], v[78:79], s[20:21], -v[72:73]
	;; [unrolled: 2-line block ×3, first 2 shown]
	v_mul_f64 v[70:71], v[10:11], v[234:235]
	v_fma_f64 v[20:21], v[20:21], s[28:29], -v[82:83]
	v_add_f64 v[82:83], v[80:81], v[88:89]
	v_fma_f64 v[60:61], v[10:11], v[232:233], v[8:9]
	v_add_f64 v[4:5], v[4:5], v[22:23]
	v_add_f64 v[72:73], v[72:73], v[22:23]
	;; [unrolled: 1-line block ×3, first 2 shown]
	v_fma_f64 v[22:23], v[62:63], s[26:27], v[78:79]
	v_add_f64 v[78:79], v[74:75], v[90:91]
	v_fma_f64 v[2:3], v[62:63], s[26:27], v[2:3]
	v_fma_f64 v[20:21], v[62:63], s[26:27], v[20:21]
	v_fma_f64 v[58:59], v[58:59], v[232:233], -v[70:71]
	v_add_f64 v[10:11], v[84:85], v[76:77]
	v_add_f64 v[108:109], v[110:111], -v[116:117]
	v_add_f64 v[112:113], v[94:95], -v[92:93]
	v_fma_f64 v[56:57], v[56:57], v[236:237], -v[6:7]
	v_add_f64 v[62:63], v[82:83], v[78:79]
	v_add_f64 v[70:71], v[72:73], -v[2:3]
	v_add_f64 v[2:3], v[2:3], v[72:73]
	v_add_f64 v[72:73], v[114:115], -v[86:87]
	v_add_f64 v[6:7], v[22:23], v[4:5]
	v_add_f64 v[8:9], v[20:21], v[0:1]
	v_add_f64 v[0:1], v[0:1], -v[20:21]
	v_add_f64 v[4:5], v[4:5], -v[22:23]
	v_add_f64 v[20:21], v[10:11], v[62:63]
	v_add_f64 v[22:23], v[78:79], -v[10:11]
	v_add_f64 v[10:11], v[10:11], -v[82:83]
	;; [unrolled: 3-line block ×3, first 2 shown]
	v_add_f64 v[78:79], v[82:83], -v[78:79]
	v_add_f64 v[82:83], v[72:73], -v[112:113]
	v_add_f64 v[104:105], v[104:105], v[20:21]
	v_mul_f64 v[22:23], v[22:23], s[6:7]
	v_mul_f64 v[112:113], v[10:11], s[4:5]
	v_add_f64 v[62:63], v[62:63], v[72:73]
	v_mul_f64 v[72:73], v[164:165], s[16:17]
	v_mul_f64 v[164:165], v[108:109], s[10:11]
	v_add_f64 v[166:167], v[14:15], v[44:45]
	v_add_f64 v[168:169], v[18:19], v[30:31]
	v_fma_f64 v[20:21], v[20:21], s[18:19], v[104:105]
	v_fma_f64 v[10:11], v[10:11], s[4:5], v[22:23]
	v_fma_f64 v[112:113], v[78:79], s[20:21], -v[112:113]
	v_fma_f64 v[22:23], v[78:79], s[22:23], -v[22:23]
	v_fma_f64 v[78:79], v[82:83], s[24:25], v[72:73]
	v_fma_f64 v[72:73], v[108:109], s[10:11], -v[72:73]
	v_add_f64 v[108:109], v[26:27], v[24:25]
	v_add_f64 v[170:171], v[168:169], v[166:167]
	v_fma_f64 v[82:83], v[82:83], s[28:29], -v[164:165]
	v_add_f64 v[164:165], v[66:67], -v[64:65]
	v_add_f64 v[172:173], v[32:33], -v[28:29]
	;; [unrolled: 1-line block ×3, first 2 shown]
	v_add_f64 v[10:11], v[10:11], v[20:21]
	v_add_f64 v[112:113], v[112:113], v[20:21]
	;; [unrolled: 1-line block ×4, first 2 shown]
	v_add_f64 v[170:171], v[166:167], -v[108:109]
	v_add_f64 v[108:109], v[108:109], -v[168:169]
	;; [unrolled: 1-line block ×5, first 2 shown]
	v_add_f64 v[164:165], v[172:173], v[164:165]
	v_add_f64 v[172:173], v[174:175], -v[172:173]
	v_add_f64 v[100:101], v[100:101], v[22:23]
	v_mul_f64 v[168:169], v[170:171], s[6:7]
	v_mul_f64 v[170:171], v[108:109], s[4:5]
	;; [unrolled: 1-line block ×4, first 2 shown]
	v_fma_f64 v[78:79], v[62:63], s[26:27], v[78:79]
	v_add_f64 v[164:165], v[164:165], v[174:175]
	v_fma_f64 v[72:73], v[62:63], s[26:27], v[72:73]
	v_fma_f64 v[22:23], v[22:23], s[18:19], v[100:101]
	;; [unrolled: 1-line block ×3, first 2 shown]
	v_fma_f64 v[170:171], v[166:167], s[20:21], -v[170:171]
	v_fma_f64 v[166:167], v[166:167], s[22:23], -v[168:169]
	v_fma_f64 v[168:169], v[172:173], s[24:25], v[176:177]
	v_fma_f64 v[172:173], v[172:173], s[28:29], -v[180:181]
	v_fma_f64 v[174:175], v[178:179], s[10:11], -v[176:177]
	v_fma_f64 v[62:63], v[62:63], s[26:27], v[82:83]
	v_add_f64 v[176:177], v[78:79], v[10:11]
	v_add_f64 v[82:83], v[108:109], v[22:23]
	;; [unrolled: 1-line block ×4, first 2 shown]
	v_fma_f64 v[166:167], v[164:165], s[26:27], v[168:169]
	v_fma_f64 v[168:169], v[164:165], s[26:27], v[172:173]
	;; [unrolled: 1-line block ×3, first 2 shown]
	v_add_f64 v[170:171], v[62:63], v[20:21]
	v_add_f64 v[20:21], v[20:21], -v[62:63]
	v_add_f64 v[172:173], v[112:113], -v[72:73]
	v_add_f64 v[72:73], v[72:73], v[112:113]
	v_add_f64 v[10:11], v[10:11], -v[78:79]
	v_add_f64 v[62:63], v[166:167], v[82:83]
	v_add_f64 v[112:113], v[168:169], v[22:23]
	v_add_f64 v[174:175], v[108:109], -v[164:165]
	v_mov_b32_e32 v78, 0x8c0
	v_add_f64 v[108:109], v[164:165], v[108:109]
	v_add_f64 v[22:23], v[22:23], -v[168:169]
	v_cndmask_b32_e64 v78, 0, v78, s[2:3]
	v_lshlrev_b32_e32 v79, 3, v144
	v_add_f64 v[164:165], v[82:83], -v[166:167]
	v_add3_u32 v79, 0, v78, v79
	ds_write2_b64 v79, v[16:17], v[6:7] offset1:40
	ds_write2_b64 v79, v[8:9], v[70:71] offset0:80 offset1:120
	ds_write2_b64 v79, v[2:3], v[0:1] offset0:160 offset1:200
	ds_write_b64 v79, v[4:5] offset:1920
	v_mov_b32_e32 v1, 3
	v_mul_u32_u24_e32 v0, 0x8c0, v145
	v_lshlrev_b32_sdwa v2, v1, v146 dst_sel:DWORD dst_unused:UNUSED_PAD src0_sel:DWORD src1_sel:BYTE_0
	v_add3_u32 v82, 0, v0, v2
	v_mul_u32_u24_e32 v0, 0x8c0, v147
	v_lshlrev_b32_sdwa v1, v1, v148 dst_sel:DWORD dst_unused:UNUSED_PAD src0_sel:DWORD src1_sel:BYTE_0
	v_add3_u32 v83, 0, v0, v1
	v_lshl_add_u32 v78, v149, 3, 0
	ds_write2_b64 v82, v[104:105], v[176:177] offset1:40
	ds_write2_b64 v82, v[170:171], v[172:173] offset0:80 offset1:120
	ds_write2_b64 v82, v[72:73], v[20:21] offset0:160 offset1:200
	ds_write_b64 v82, v[10:11] offset:1920
	ds_write2_b64 v83, v[100:101], v[62:63] offset1:40
	ds_write2_b64 v83, v[112:113], v[174:175] offset0:80 offset1:120
	ds_write2_b64 v83, v[108:109], v[22:23] offset0:160 offset1:200
	ds_write_b64 v83, v[164:165] offset:1920
	s_and_saveexec_b64 s[2:3], s[0:1]
	s_cbranch_execz .LBB0_41
; %bb.40:
	v_add_f64 v[0:1], v[36:37], v[60:61]
	v_add_f64 v[2:3], v[38:39], v[54:55]
	v_add_f64 v[4:5], v[52:53], -v[48:49]
	v_add_f64 v[6:7], v[46:47], -v[56:57]
	v_add_f64 v[8:9], v[40:41], v[50:51]
	v_add_f64 v[10:11], v[42:43], -v[58:59]
	v_add_f64 v[16:17], v[2:3], v[0:1]
	v_add_f64 v[20:21], v[4:5], -v[6:7]
	v_add_f64 v[22:23], v[0:1], -v[8:9]
	;; [unrolled: 1-line block ×5, first 2 shown]
	v_add_f64 v[8:9], v[8:9], v[16:17]
	v_add_f64 v[16:17], v[10:11], -v[4:5]
	v_add_f64 v[4:5], v[4:5], v[6:7]
	v_mul_f64 v[2:3], v[20:21], s[16:17]
	v_mul_f64 v[6:7], v[22:23], s[6:7]
	;; [unrolled: 1-line block ×4, first 2 shown]
	v_add_f64 v[22:23], v[96:97], v[8:9]
	v_add_f64 v[4:5], v[4:5], v[10:11]
	v_fma_f64 v[10:11], v[16:17], s[24:25], v[2:3]
	v_fma_f64 v[96:97], v[0:1], s[22:23], -v[6:7]
	v_fma_f64 v[6:7], v[70:71], s[4:5], v[6:7]
	v_fma_f64 v[16:17], v[16:17], s[28:29], -v[20:21]
	v_fma_f64 v[2:3], v[62:63], s[10:11], -v[2:3]
	v_fma_f64 v[8:9], v[8:9], s[18:19], v[22:23]
	v_fma_f64 v[0:1], v[0:1], s[20:21], -v[72:73]
	v_fma_f64 v[10:11], v[4:5], s[26:27], v[10:11]
	v_fma_f64 v[16:17], v[4:5], s[26:27], v[16:17]
	;; [unrolled: 1-line block ×3, first 2 shown]
	v_add_f64 v[6:7], v[6:7], v[8:9]
	v_add_f64 v[4:5], v[96:97], v[8:9]
	;; [unrolled: 1-line block ×4, first 2 shown]
	v_add_f64 v[8:9], v[4:5], -v[16:17]
	v_add_f64 v[20:21], v[0:1], -v[2:3]
	v_add_f64 v[4:5], v[16:17], v[4:5]
	v_add_f64 v[0:1], v[2:3], v[0:1]
	v_add_f64 v[2:3], v[6:7], -v[10:11]
	v_add_u32_e32 v6, 0x2000, v78
	v_add_u32_e32 v7, 0x2800, v78
	ds_write2_b64 v6, v[22:23], v[62:63] offset0:96 offset1:136
	ds_write2_b64 v6, v[4:5], v[20:21] offset0:176 offset1:216
	ds_write2_b64 v7, v[0:1], v[8:9] offset1:40
	ds_write_b64 v78, v[2:3] offset:10880
.LBB0_41:
	s_or_b64 exec, exec, s[2:3]
	v_add_f64 v[0:1], v[120:121], v[142:143]
	v_add_f64 v[2:3], v[126:127], v[140:141]
	v_add_f64 v[4:5], v[122:123], -v[138:139]
	v_add_f64 v[6:7], v[128:129], v[134:135]
	v_add_f64 v[8:9], v[130:131], -v[124:125]
	v_add_f64 v[10:11], v[118:119], -v[136:137]
	v_add_f64 v[62:63], v[114:115], v[86:87]
	v_add_f64 v[72:73], v[110:111], v[116:117]
	;; [unrolled: 1-line block ×4, first 2 shown]
	v_add_f64 v[14:15], v[14:15], -v[44:45]
	v_add_f64 v[20:21], v[0:1], -v[6:7]
	;; [unrolled: 1-line block ×4, first 2 shown]
	v_add_f64 v[4:5], v[8:9], v[4:5]
	v_add_f64 v[8:9], v[10:11], -v[8:9]
	v_add_f64 v[0:1], v[2:3], -v[0:1]
	v_add_f64 v[16:17], v[6:7], v[16:17]
	v_add_f64 v[6:7], v[6:7], -v[2:3]
	v_mul_f64 v[20:21], v[20:21], s[6:7]
	v_mul_f64 v[22:23], v[22:23], s[16:17]
	;; [unrolled: 1-line block ×3, first 2 shown]
	v_add_f64 v[4:5], v[4:5], v[10:11]
	s_waitcnt lgkmcnt(0)
	; wave barrier
	s_waitcnt lgkmcnt(0)
	v_add_f64 v[96:97], v[12:13], v[16:17]
	v_mul_f64 v[2:3], v[6:7], s[4:5]
	v_fma_f64 v[6:7], v[6:7], s[4:5], v[20:21]
	v_fma_f64 v[10:11], v[8:9], s[24:25], v[22:23]
	v_fma_f64 v[12:13], v[70:71], s[10:11], -v[22:23]
	v_fma_f64 v[8:9], v[8:9], s[28:29], -v[86:87]
	;; [unrolled: 1-line block ×3, first 2 shown]
	v_add_f64 v[22:23], v[72:73], v[62:63]
	v_fma_f64 v[16:17], v[16:17], s[18:19], v[96:97]
	v_fma_f64 v[0:1], v[0:1], s[20:21], -v[2:3]
	v_add_f64 v[2:3], v[92:93], v[94:95]
	v_fma_f64 v[10:11], v[4:5], s[26:27], v[10:11]
	v_fma_f64 v[12:13], v[4:5], s[26:27], v[12:13]
	;; [unrolled: 1-line block ×3, first 2 shown]
	v_add_f64 v[70:71], v[76:77], -v[84:85]
	ds_read_b64 v[68:69], v162
	v_add_f64 v[6:7], v[6:7], v[16:17]
	v_add_f64 v[8:9], v[20:21], v[16:17]
	;; [unrolled: 1-line block ×3, first 2 shown]
	v_add_f64 v[16:17], v[74:75], -v[90:91]
	v_add_f64 v[20:21], v[80:81], -v[88:89]
	;; [unrolled: 1-line block ×3, first 2 shown]
	v_add_f64 v[22:23], v[2:3], v[22:23]
	v_add_f64 v[76:77], v[6:7], -v[10:11]
	v_add_f64 v[80:81], v[8:9], -v[4:5]
	v_add_f64 v[84:85], v[12:13], v[0:1]
	v_add_f64 v[86:87], v[0:1], -v[12:13]
	v_add_f64 v[88:89], v[4:5], v[8:9]
	v_add_f64 v[90:91], v[10:11], v[6:7]
	v_add_f64 v[0:1], v[2:3], -v[72:73]
	v_add_f64 v[2:3], v[70:71], v[20:21]
	v_add_f64 v[4:5], v[70:71], -v[20:21]
	v_add_f64 v[6:7], v[20:21], -v[16:17]
	;; [unrolled: 1-line block ×4, first 2 shown]
	v_add_f64 v[92:93], v[106:107], v[22:23]
	v_mul_f64 v[12:13], v[74:75], s[6:7]
	v_mul_f64 v[20:21], v[0:1], s[4:5]
	v_add_f64 v[2:3], v[2:3], v[16:17]
	v_mul_f64 v[4:5], v[4:5], s[16:17]
	v_mul_f64 v[16:17], v[6:7], s[10:11]
	v_add_f64 v[62:63], v[66:67], v[64:65]
	v_fma_f64 v[22:23], v[22:23], s[18:19], v[92:93]
	v_fma_f64 v[0:1], v[0:1], s[4:5], v[12:13]
	v_fma_f64 v[20:21], v[8:9], s[20:21], -v[20:21]
	v_fma_f64 v[8:9], v[8:9], s[22:23], -v[12:13]
	v_fma_f64 v[12:13], v[10:11], s[24:25], v[4:5]
	v_fma_f64 v[4:5], v[6:7], s[10:11], -v[4:5]
	v_add_f64 v[6:7], v[28:29], v[32:33]
	v_add_f64 v[28:29], v[62:63], v[34:35]
	v_fma_f64 v[10:11], v[10:11], s[28:29], -v[16:17]
	v_add_f64 v[16:17], v[18:19], -v[30:31]
	v_add_f64 v[18:19], v[24:25], -v[26:27]
	v_add_f64 v[0:1], v[0:1], v[22:23]
	v_add_f64 v[20:21], v[20:21], v[22:23]
	;; [unrolled: 1-line block ×3, first 2 shown]
	v_add_f64 v[24:25], v[34:35], -v[6:7]
	v_add_f64 v[22:23], v[6:7], v[28:29]
	v_add_f64 v[6:7], v[6:7], -v[62:63]
	v_add_f64 v[28:29], v[16:17], -v[14:15]
	;; [unrolled: 1-line block ×4, first 2 shown]
	v_add_f64 v[16:17], v[18:19], v[16:17]
	v_add_f64 v[18:19], v[14:15], -v[18:19]
	v_mul_f64 v[24:25], v[24:25], s[6:7]
	v_add_f64 v[64:65], v[102:103], v[22:23]
	v_mul_f64 v[32:33], v[6:7], s[4:5]
	v_mul_f64 v[34:35], v[28:29], s[10:11]
	;; [unrolled: 1-line block ×3, first 2 shown]
	v_fma_f64 v[12:13], v[2:3], s[26:27], v[12:13]
	v_add_f64 v[14:15], v[16:17], v[14:15]
	v_fma_f64 v[4:5], v[2:3], s[26:27], v[4:5]
	v_fma_f64 v[6:7], v[6:7], s[4:5], v[24:25]
	;; [unrolled: 1-line block ×3, first 2 shown]
	v_fma_f64 v[22:23], v[30:31], s[20:21], -v[32:33]
	v_fma_f64 v[24:25], v[30:31], s[22:23], -v[24:25]
	v_fma_f64 v[30:31], v[18:19], s[24:25], v[26:27]
	v_fma_f64 v[18:19], v[18:19], s[28:29], -v[34:35]
	v_fma_f64 v[26:27], v[28:29], s[10:11], -v[26:27]
	v_fma_f64 v[2:3], v[2:3], s[26:27], v[10:11]
	v_add_f64 v[94:95], v[0:1], -v[12:13]
	v_add_f64 v[6:7], v[6:7], v[16:17]
	v_add_f64 v[10:11], v[22:23], v[16:17]
	;; [unrolled: 1-line block ×3, first 2 shown]
	v_fma_f64 v[22:23], v[14:15], s[26:27], v[30:31]
	v_fma_f64 v[18:19], v[14:15], s[26:27], v[18:19]
	;; [unrolled: 1-line block ×3, first 2 shown]
	v_add_f64 v[102:103], v[4:5], v[20:21]
	v_add_f64 v[104:105], v[20:21], -v[4:5]
	v_add_f64 v[108:109], v[12:13], v[0:1]
	v_add_u32_e32 v20, 0x1800, v157
	v_add_u32_e32 v12, 0x2000, v157
	;; [unrolled: 1-line block ×4, first 2 shown]
	v_add_f64 v[100:101], v[8:9], -v[2:3]
	v_add_f64 v[106:107], v[2:3], v[8:9]
	v_add_f64 v[110:111], v[6:7], -v[22:23]
	v_add_f64 v[112:113], v[16:17], -v[18:19]
	v_add_f64 v[114:115], v[14:15], v[10:11]
	v_add_f64 v[116:117], v[10:11], -v[14:15]
	v_add_f64 v[118:119], v[18:19], v[16:17]
	v_add_f64 v[120:121], v[22:23], v[6:7]
	ds_read2_b64 v[4:7], v20 offset0:72 offset1:128
	ds_read2_b64 v[0:3], v12 offset0:40 offset1:96
	;; [unrolled: 1-line block ×6, first 2 shown]
	ds_read_b64 v[66:67], v157
	ds_read_b64 v[72:73], v158
	;; [unrolled: 1-line block ×4, first 2 shown]
	ds_read2_b64 v[24:27], v24 offset0:192 offset1:248
	v_add_u32_e32 v28, 0x1400, v157
	ds_read2_b64 v[32:35], v28 offset0:88 offset1:144
	v_add_u32_e32 v28, 0x2800, v157
	ds_read2_b64 v[28:31], v28 offset0:8 offset1:64
	ds_read_b64 v[70:71], v161
	ds_read_b64 v[44:45], v163
	s_waitcnt lgkmcnt(0)
	; wave barrier
	s_waitcnt lgkmcnt(0)
	ds_write2_b64 v79, v[96:97], v[76:77] offset1:40
	ds_write2_b64 v79, v[80:81], v[84:85] offset0:80 offset1:120
	ds_write2_b64 v79, v[86:87], v[88:89] offset0:160 offset1:200
	ds_write_b64 v79, v[90:91] offset:1920
	ds_write2_b64 v82, v[92:93], v[94:95] offset1:40
	ds_write2_b64 v82, v[100:101], v[102:103] offset0:80 offset1:120
	ds_write2_b64 v82, v[104:105], v[106:107] offset0:160 offset1:200
	ds_write_b64 v82, v[108:109] offset:1920
	;; [unrolled: 4-line block ×3, first 2 shown]
	s_and_saveexec_b64 s[2:3], s[0:1]
	s_cbranch_execz .LBB0_43
; %bb.42:
	v_add_f64 v[42:43], v[42:43], v[58:59]
	v_add_f64 v[46:47], v[46:47], v[56:57]
	;; [unrolled: 1-line block ×3, first 2 shown]
	v_add_f64 v[40:41], v[50:51], -v[40:41]
	v_add_f64 v[38:39], v[38:39], -v[54:55]
	;; [unrolled: 1-line block ×3, first 2 shown]
	s_mov_b32 s0, 0x37e14327
	s_mov_b32 s1, 0x3fe948f6
	;; [unrolled: 1-line block ×3, first 2 shown]
	v_add_f64 v[50:51], v[46:47], v[42:43]
	v_add_f64 v[52:53], v[42:43], -v[48:49]
	v_add_f64 v[42:43], v[46:47], -v[42:43]
	v_add_f64 v[54:55], v[40:41], v[38:39]
	v_add_f64 v[56:57], v[40:41], -v[38:39]
	v_add_f64 v[38:39], v[38:39], -v[36:37]
	s_mov_b32 s7, 0x3fe11646
	v_add_f64 v[40:41], v[36:37], -v[40:41]
	v_add_f64 v[50:51], v[48:49], v[50:51]
	v_add_f64 v[48:49], v[48:49], -v[46:47]
	v_mul_f64 v[52:53], v[52:53], s[0:1]
	v_add_f64 v[36:37], v[54:55], v[36:37]
	v_mul_f64 v[54:55], v[56:57], s[6:7]
	v_mul_f64 v[56:57], v[38:39], s[10:11]
	s_mov_b32 s1, 0x3fe77f67
	s_mov_b32 s0, 0x5476071b
	v_add_f64 v[58:59], v[98:99], v[50:51]
	v_mul_f64 v[46:47], v[48:49], s[4:5]
	s_mov_b32 s16, 0xaaaaaaaa
	s_mov_b32 s17, 0xbff2aaaa
	v_fma_f64 v[48:49], v[48:49], s[4:5], v[52:53]
	v_fma_f64 v[38:39], v[38:39], s[10:11], -v[54:55]
	v_fma_f64 v[50:51], v[50:51], s[16:17], v[58:59]
	v_fma_f64 v[46:47], v[42:43], s[0:1], -v[46:47]
	s_mov_b32 s1, 0xbfe77f67
	v_fma_f64 v[42:43], v[42:43], s[0:1], -v[52:53]
	s_mov_b32 s1, 0xbfd5d0dc
	s_mov_b32 s0, 0xb247c609
	v_fma_f64 v[52:53], v[40:41], s[0:1], v[54:55]
	s_mov_b32 s1, 0x3fd5d0dc
	v_fma_f64 v[40:41], v[40:41], s[0:1], -v[56:57]
	s_mov_b32 s0, 0x37c3f68c
	s_mov_b32 s1, 0xbfdc38aa
	v_add_f64 v[48:49], v[48:49], v[50:51]
	v_add_f64 v[46:47], v[46:47], v[50:51]
	;; [unrolled: 1-line block ×3, first 2 shown]
	v_fma_f64 v[50:51], v[36:37], s[0:1], v[52:53]
	v_fma_f64 v[40:41], v[36:37], s[0:1], v[40:41]
	v_fma_f64 v[36:37], v[36:37], s[0:1], v[38:39]
	v_add_f64 v[38:39], v[48:49], -v[50:51]
	v_add_f64 v[52:53], v[42:43], -v[40:41]
	v_add_f64 v[54:55], v[36:37], v[46:47]
	v_add_f64 v[36:37], v[46:47], -v[36:37]
	v_add_f64 v[40:41], v[40:41], v[42:43]
	v_add_f64 v[42:43], v[50:51], v[48:49]
	v_add_u32_e32 v46, 0x2000, v78
	ds_write2_b64 v46, v[58:59], v[38:39] offset0:96 offset1:136
	ds_write2_b64 v46, v[52:53], v[54:55] offset0:176 offset1:216
	v_add_u32_e32 v38, 0x2800, v78
	ds_write2_b64 v38, v[36:37], v[40:41] offset1:40
	ds_write_b64 v78, v[42:43] offset:10880
.LBB0_43:
	s_or_b64 exec, exec, s[2:3]
	s_waitcnt lgkmcnt(0)
	; wave barrier
	s_waitcnt lgkmcnt(0)
	s_and_saveexec_b64 s[0:1], vcc
	s_cbranch_execz .LBB0_45
; %bb.44:
	v_lshlrev_b32_e32 v76, 2, v156
	v_mov_b32_e32 v77, 0
	v_lshlrev_b64 v[36:37], 4, v[76:77]
	v_lshlrev_b32_e32 v76, 2, v155
	v_lshlrev_b64 v[46:47], 4, v[76:77]
	v_mov_b32_e32 v78, s9
	v_add_co_u32_e32 v36, vcc, s8, v36
	v_add_co_u32_e64 v46, s[0:1], s8, v46
	v_addc_co_u32_e32 v84, vcc, v78, v37, vcc
	s_movk_i32 s9, 0x1160
	v_addc_co_u32_e64 v47, s[0:1], v78, v47, s[0:1]
	v_add_co_u32_e32 v64, vcc, 0x1160, v36
	v_add_co_u32_e64 v80, s[0:1], s9, v46
	v_addc_co_u32_e32 v65, vcc, 0, v84, vcc
	s_movk_i32 s16, 0x1000
	v_addc_co_u32_e64 v81, s[0:1], 0, v47, s[0:1]
	v_add_co_u32_e32 v79, vcc, 0x1000, v36
	v_add_co_u32_e64 v82, s[0:1], s16, v46
	global_load_dwordx4 v[36:39], v[64:65], off offset:32
	global_load_dwordx4 v[40:43], v[64:65], off offset:16
	v_addc_co_u32_e64 v83, s[0:1], 0, v47, s[0:1]
	global_load_dwordx4 v[46:49], v[80:81], off offset:32
	global_load_dwordx4 v[58:61], v[80:81], off offset:16
	;; [unrolled: 1-line block ×4, first 2 shown]
	v_addc_co_u32_e32 v80, vcc, 0, v84, vcc
	global_load_dwordx4 v[82:85], v[79:80], off offset:352
	global_load_dwordx4 v[86:89], v[64:65], off offset:48
	v_add_u32_e32 v102, 0x2800, v157
	v_add_u32_e32 v79, 0x1800, v157
	v_add_u32_e32 v76, 0x1400, v157
	v_add_u32_e32 v81, 0x800, v157
	v_add_u32_e32 v80, 0x2000, v157
	ds_read_b64 v[64:65], v163
	ds_read_b64 v[138:139], v162
	;; [unrolled: 1-line block ×3, first 2 shown]
	ds_read2_b64 v[90:93], v76 offset0:88 offset1:144
	ds_read2_b64 v[94:97], v81 offset0:192 offset1:248
	;; [unrolled: 1-line block ×5, first 2 shown]
	s_mov_b32 s6, 0x134454ff
	s_mov_b32 s7, 0x3fee6f0e
	;; [unrolled: 1-line block ×8, first 2 shown]
	v_lshlrev_b32_e32 v76, 2, v152
	s_mov_b32 s0, 0x372fe950
	s_mov_b32 s1, 0x3fd3c6ef
	ds_read_b64 v[142:143], v159
	s_waitcnt vmcnt(7)
	v_mul_f64 v[112:113], v[0:1], v[38:39]
	s_waitcnt vmcnt(6)
	v_mul_f64 v[110:111], v[34:35], v[42:43]
	;; [unrolled: 2-line block ×3, first 2 shown]
	v_mul_f64 v[118:119], v[22:23], v[48:49]
	s_waitcnt lgkmcnt(5)
	v_mul_f64 v[60:61], v[90:91], v[60:61]
	s_waitcnt lgkmcnt(1)
	v_mul_f64 v[48:49], v[108:109], v[48:49]
	s_waitcnt vmcnt(1)
	v_mul_f64 v[122:123], v[26:27], v[84:85]
	s_waitcnt vmcnt(0)
	v_mul_f64 v[124:125], v[30:31], v[88:89]
	v_mul_f64 v[42:43], v[92:93], v[42:43]
	;; [unrolled: 1-line block ×5, first 2 shown]
	v_fma_f64 v[92:93], v[40:41], v[92:93], -v[110:111]
	v_fma_f64 v[98:99], v[36:37], v[98:99], -v[112:113]
	v_fma_f64 v[134:135], v[32:33], v[58:59], v[60:61]
	v_fma_f64 v[136:137], v[22:23], v[46:47], v[48:49]
	v_fma_f64 v[22:23], v[82:83], v[96:97], -v[122:123]
	v_fma_f64 v[32:33], v[86:87], v[104:105], -v[124:125]
	v_fma_f64 v[34:35], v[34:35], v[40:41], v[42:43]
	v_fma_f64 v[0:1], v[0:1], v[36:37], v[38:39]
	;; [unrolled: 1-line block ×4, first 2 shown]
	v_add_f64 v[36:37], v[92:93], v[98:99]
	v_mul_f64 v[116:117], v[24:25], v[52:53]
	v_add_f64 v[48:49], v[92:93], -v[22:23]
	v_add_f64 v[82:83], v[22:23], v[32:33]
	v_add_f64 v[60:61], v[98:99], -v[32:33]
	v_add_f64 v[30:31], v[34:35], -v[0:1]
	v_add_f64 v[40:41], v[34:35], v[0:1]
	v_add_f64 v[84:85], v[26:27], -v[42:43]
	v_add_f64 v[96:97], v[22:23], v[64:65]
	v_add_f64 v[112:113], v[26:27], v[42:43]
	v_fma_f64 v[36:37], v[36:37], -0.5, v[64:65]
	v_fma_f64 v[64:65], v[82:83], -0.5, v[64:65]
	v_add_f64 v[38:39], v[92:93], -v[98:99]
	v_add_f64 v[86:87], v[22:23], -v[92:93]
	;; [unrolled: 1-line block ×5, first 2 shown]
	v_add_f64 v[126:127], v[44:45], v[26:27]
	v_fma_f64 v[26:27], v[112:113], -0.5, v[44:45]
	v_fma_f64 v[112:113], v[40:41], -0.5, v[44:45]
	v_add_f64 v[48:49], v[48:49], v[60:61]
	v_add_f64 v[40:41], v[92:93], v[96:97]
	v_fma_f64 v[44:45], v[84:85], s[10:11], v[36:37]
	v_fma_f64 v[36:37], v[84:85], s[6:7], v[36:37]
	;; [unrolled: 1-line block ×4, first 2 shown]
	v_mul_f64 v[52:53], v[94:95], v[52:53]
	v_fma_f64 v[110:111], v[50:51], v[94:95], -v[116:117]
	v_add_f64 v[116:117], v[0:1], -v[42:43]
	v_add_f64 v[22:23], v[22:23], -v[32:33]
	v_fma_f64 v[82:83], v[38:39], s[10:11], v[26:27]
	v_add_f64 v[86:87], v[86:87], v[88:89]
	v_add_f64 v[40:41], v[98:99], v[40:41]
	v_fma_f64 v[88:89], v[30:31], s[2:3], v[44:45]
	v_fma_f64 v[30:31], v[30:31], s[4:5], v[36:37]
	;; [unrolled: 1-line block ×5, first 2 shown]
	v_lshlrev_b64 v[24:25], 4, v[76:77]
	v_add_f64 v[104:105], v[104:105], v[116:117]
	v_add_co_u32_e32 v50, vcc, s8, v24
	v_addc_co_u32_e32 v51, vcc, v78, v25, vcc
	v_add_co_u32_e32 v24, vcc, s9, v50
	v_addc_co_u32_e32 v25, vcc, 0, v51, vcc
	;; [unrolled: 2-line block ×3, first 2 shown]
	v_fma_f64 v[64:65], v[22:23], s[4:5], v[82:83]
	v_fma_f64 v[116:117], v[38:39], s[6:7], v[26:27]
	v_add_f64 v[44:45], v[32:33], v[40:41]
	v_fma_f64 v[26:27], v[86:87], s[0:1], v[88:89]
	v_fma_f64 v[40:41], v[86:87], s[0:1], v[30:31]
	;; [unrolled: 1-line block ×4, first 2 shown]
	ds_read_b64 v[60:61], v160
	v_fma_f64 v[58:59], v[58:59], v[90:91], -v[114:115]
	global_load_dwordx4 v[82:85], v[24:25], off offset:32
	global_load_dwordx4 v[86:89], v[24:25], off offset:16
	;; [unrolled: 1-line block ×4, first 2 shown]
	v_mul_f64 v[120:121], v[28:29], v[56:57]
	v_fma_f64 v[46:47], v[46:47], v[108:109], -v[118:119]
	v_add_f64 v[124:125], v[42:43], -v[0:1]
	v_fma_f64 v[98:99], v[22:23], s[6:7], v[112:113]
	v_mul_f64 v[56:57], v[102:103], v[56:57]
	v_add_f64 v[34:35], v[34:35], v[126:127]
	v_add_f64 v[50:51], v[58:59], -v[110:111]
	v_fma_f64 v[30:31], v[104:105], s[0:1], v[64:65]
	v_fma_f64 v[120:121], v[54:55], v[102:103], -v[120:121]
	v_add_f64 v[64:65], v[134:135], -v[136:137]
	v_fma_f64 v[24:25], v[22:23], s[10:11], v[112:113]
	v_add_f64 v[102:103], v[122:123], v[124:125]
	v_fma_f64 v[28:29], v[28:29], v[54:55], v[56:57]
	v_fma_f64 v[98:99], v[38:39], s[4:5], v[98:99]
	v_add_f64 v[0:1], v[34:35], v[0:1]
	v_fma_f64 v[22:23], v[22:23], s[2:3], v[116:117]
	v_add_f64 v[48:49], v[110:111], v[120:121]
	v_add_f64 v[52:53], v[46:47], -v[120:121]
	v_fma_f64 v[38:39], v[38:39], s[2:3], v[24:25]
	v_add_f64 v[146:147], v[58:59], -v[46:47]
	v_add_f64 v[56:57], v[144:145], -v[28:29]
	v_fma_f64 v[24:25], v[102:103], s[0:1], v[98:99]
	v_add_f64 v[98:99], v[144:145], v[28:29]
	v_add_f64 v[42:43], v[0:1], v[42:43]
	s_waitcnt lgkmcnt(0)
	v_fma_f64 v[48:49], v[48:49], -0.5, v[60:61]
	v_add_f64 v[50:51], v[50:51], v[52:53]
	v_add_f64 v[52:53], v[58:59], v[46:47]
	v_fma_f64 v[34:35], v[104:105], s[0:1], v[22:23]
	v_fma_f64 v[38:39], v[102:103], s[0:1], v[38:39]
	v_add_f64 v[104:105], v[136:137], -v[28:29]
	v_fma_f64 v[98:99], v[98:99], -0.5, v[62:63]
	v_add_f64 v[148:149], v[110:111], -v[120:121]
	v_fma_f64 v[54:55], v[64:65], s[6:7], v[48:49]
	v_fma_f64 v[22:23], v[64:65], s[10:11], v[48:49]
	v_fma_f64 v[0:1], v[52:53], -0.5, v[60:61]
	v_add_f64 v[52:53], v[110:111], v[60:61]
	v_add_f64 v[60:61], v[120:121], -v[46:47]
	v_lshlrev_b32_e32 v76, 2, v154
	v_fma_f64 v[108:109], v[146:147], s[10:11], v[98:99]
	v_fma_f64 v[98:99], v[146:147], s[6:7], v[98:99]
	;; [unrolled: 1-line block ×5, first 2 shown]
	v_add_f64 v[52:53], v[58:59], v[52:53]
	v_fma_f64 v[0:1], v[56:57], s[6:7], v[0:1]
	v_add_f64 v[56:57], v[134:135], v[136:137]
	v_add_f64 v[122:123], v[144:145], -v[134:135]
	v_fma_f64 v[98:99], v[148:149], s[2:3], v[98:99]
	v_fma_f64 v[48:49], v[50:51], s[0:1], v[54:55]
	v_add_f64 v[54:55], v[110:111], -v[58:59]
	v_add_f64 v[58:59], v[134:135], -v[144:145]
	v_add_f64 v[46:47], v[46:47], v[52:53]
	v_lshlrev_b64 v[52:53], 4, v[76:77]
	v_fma_f64 v[155:156], v[56:57], -0.5, v[62:63]
	v_fma_f64 v[0:1], v[64:65], s[4:5], v[0:1]
	v_add_co_u32_e32 v56, vcc, s8, v52
	v_add_f64 v[54:55], v[54:55], v[60:61]
	v_fma_f64 v[60:61], v[64:65], s[2:3], v[102:103]
	v_add_f64 v[58:59], v[58:59], v[104:105]
	v_fma_f64 v[64:65], v[148:149], s[4:5], v[108:109]
	v_add_f64 v[124:125], v[28:29], -v[136:137]
	v_addc_co_u32_e32 v57, vcc, v78, v53, vcc
	v_add_co_u32_e32 v52, vcc, s9, v56
	v_addc_co_u32_e32 v53, vcc, 0, v57, vcc
	v_add_co_u32_e32 v56, vcc, s16, v56
	v_addc_co_u32_e32 v57, vcc, 0, v57, vcc
	global_load_dwordx4 v[102:105], v[56:57], off offset:352
	global_load_dwordx4 v[108:111], v[52:53], off offset:48
	;; [unrolled: 1-line block ×4, first 2 shown]
	v_fma_f64 v[52:53], v[50:51], s[0:1], v[22:23]
	v_fma_f64 v[22:23], v[54:55], s[0:1], v[60:61]
	v_add_f64 v[60:61], v[120:121], v[46:47]
	v_fma_f64 v[46:47], v[58:59], s[0:1], v[64:65]
	v_fma_f64 v[50:51], v[58:59], s[0:1], v[98:99]
	v_add_u32_e32 v58, 0x1000, v157
	v_fma_f64 v[126:127], v[148:149], s[6:7], v[155:156]
	v_fma_f64 v[56:57], v[54:55], s[0:1], v[0:1]
	v_add_f64 v[0:1], v[122:123], v[124:125]
	ds_read2_b64 v[120:123], v58 offset0:104 offset1:160
	s_waitcnt vmcnt(6)
	v_mul_f64 v[58:59], v[18:19], v[88:89]
	s_waitcnt vmcnt(5)
	v_mul_f64 v[64:65], v[10:11], v[92:93]
	;; [unrolled: 2-line block ×3, first 2 shown]
	v_mul_f64 v[159:160], v[20:21], v[84:85]
	s_waitcnt lgkmcnt(0)
	v_mul_f64 v[88:89], v[122:123], v[88:89]
	v_fma_f64 v[54:55], v[146:147], s[4:5], v[126:127]
	ds_read2_b64 v[124:127], v81 offset0:80 offset1:136
	ds_read2_b64 v[128:131], v80 offset0:152 offset1:208
	v_mul_f64 v[80:81], v[106:107], v[84:85]
	v_fma_f64 v[58:59], v[86:87], v[122:123], -v[58:59]
	v_add_f64 v[62:63], v[62:63], v[144:145]
	s_waitcnt lgkmcnt(1)
	v_fma_f64 v[64:65], v[90:91], v[126:127], -v[64:65]
	s_waitcnt lgkmcnt(0)
	v_fma_f64 v[84:85], v[94:95], v[130:131], -v[98:99]
	v_fma_f64 v[98:99], v[82:83], v[106:107], -v[159:160]
	v_fma_f64 v[106:107], v[18:19], v[86:87], v[88:89]
	v_mul_f64 v[18:19], v[126:127], v[92:93]
	v_mul_f64 v[86:87], v[130:131], v[96:97]
	v_fma_f64 v[122:123], v[20:21], v[82:83], v[80:81]
	v_fma_f64 v[80:81], v[148:149], s[10:11], v[155:156]
	v_add_f64 v[82:83], v[58:59], -v[64:65]
	v_add_f64 v[20:21], v[64:65], v[84:85]
	v_add_f64 v[88:89], v[98:99], -v[84:85]
	v_add_f64 v[92:93], v[64:65], -v[58:59]
	v_fma_f64 v[126:127], v[10:11], v[90:91], v[18:19]
	v_fma_f64 v[130:131], v[14:15], v[94:95], v[86:87]
	v_add_f64 v[14:15], v[58:59], v[98:99]
	v_add_f64 v[10:11], v[106:107], -v[122:123]
	v_add_f64 v[90:91], v[64:65], v[142:143]
	v_fma_f64 v[18:19], v[20:21], -0.5, v[142:143]
	v_fma_f64 v[20:21], v[0:1], s[0:1], v[54:55]
	v_fma_f64 v[54:55], v[146:147], s[2:3], v[80:81]
	v_add_f64 v[82:83], v[82:83], v[88:89]
	v_add_f64 v[80:81], v[126:127], v[130:131]
	v_add_f64 v[86:87], v[126:127], -v[130:131]
	v_fma_f64 v[14:15], v[14:15], -0.5, v[142:143]
	v_add_f64 v[146:147], v[58:59], -v[98:99]
	v_fma_f64 v[88:89], v[10:11], s[6:7], v[18:19]
	v_fma_f64 v[18:19], v[10:11], s[10:11], v[18:19]
	v_add_f64 v[58:59], v[58:59], v[90:91]
	v_add_f64 v[90:91], v[106:107], -v[126:127]
	v_fma_f64 v[142:143], v[80:81], -0.5, v[74:75]
	v_add_f64 v[80:81], v[84:85], -v[98:99]
	v_fma_f64 v[94:95], v[86:87], s[10:11], v[14:15]
	v_fma_f64 v[14:15], v[86:87], s[6:7], v[14:15]
	v_add_f64 v[96:97], v[122:123], -v[130:131]
	v_add_f64 v[148:149], v[64:65], -v[84:85]
	v_fma_f64 v[88:89], v[86:87], s[2:3], v[88:89]
	v_fma_f64 v[18:19], v[86:87], s[4:5], v[18:19]
	;; [unrolled: 1-line block ×3, first 2 shown]
	v_add_f64 v[80:81], v[92:93], v[80:81]
	v_fma_f64 v[86:87], v[10:11], s[2:3], v[94:95]
	v_fma_f64 v[92:93], v[10:11], s[4:5], v[14:15]
	v_add_f64 v[94:95], v[98:99], v[58:59]
	v_add_f64 v[62:63], v[134:135], v[62:63]
	v_lshlrev_b32_e32 v76, 2, v150
	v_lshlrev_b64 v[76:77], 4, v[76:77]
	v_add_f64 v[98:99], v[90:91], v[96:97]
	v_fma_f64 v[90:91], v[148:149], s[4:5], v[64:65]
	v_fma_f64 v[64:65], v[82:83], s[0:1], v[88:89]
	;; [unrolled: 1-line block ×5, first 2 shown]
	v_add_f64 v[80:81], v[84:85], v[94:95]
	ds_read2_b64 v[82:85], v79 offset0:72 offset1:128
	v_add_co_u32_e32 v79, vcc, s8, v76
	v_addc_co_u32_e32 v78, vcc, v78, v77, vcc
	v_add_f64 v[62:63], v[62:63], v[136:137]
	v_add_co_u32_e32 v76, vcc, s16, v79
	v_addc_co_u32_e32 v77, vcc, 0, v78, vcc
	global_load_dwordx4 v[86:89], v[76:77], off offset:352
	v_add_co_u32_e32 v76, vcc, s9, v79
	v_addc_co_u32_e32 v77, vcc, 0, v78, vcc
	ds_read_b64 v[144:145], v158
	v_add_f64 v[58:59], v[62:63], v[28:29]
	v_fma_f64 v[62:63], v[98:99], s[0:1], v[90:91]
	global_load_dwordx4 v[90:93], v[76:77], off offset:48
	global_load_dwordx4 v[94:97], v[76:77], off offset:32
	;; [unrolled: 1-line block ×3, first 2 shown]
	v_fma_f64 v[54:55], v[0:1], s[0:1], v[54:55]
	v_add_f64 v[0:1], v[106:107], v[122:123]
	s_waitcnt vmcnt(7)
	v_mul_f64 v[28:29], v[8:9], v[104:105]
	s_waitcnt vmcnt(6)
	v_mul_f64 v[154:155], v[12:13], v[110:111]
	;; [unrolled: 2-line block ×3, first 2 shown]
	s_waitcnt lgkmcnt(1)
	v_mul_f64 v[160:161], v[84:85], v[114:115]
	v_fma_f64 v[76:77], v[146:147], s[6:7], v[142:143]
	v_mul_f64 v[118:119], v[16:17], v[118:119]
	v_mul_f64 v[114:115], v[6:7], v[114:115]
	v_fma_f64 v[0:1], v[0:1], -0.5, v[74:75]
	v_fma_f64 v[28:29], v[102:103], v[124:125], -v[28:29]
	v_fma_f64 v[154:155], v[108:109], v[128:129], -v[154:155]
	v_fma_f64 v[142:143], v[16:17], v[116:117], v[158:159]
	v_mul_f64 v[16:17], v[124:125], v[104:105]
	v_mul_f64 v[104:105], v[128:129], v[110:111]
	v_add_f64 v[78:79], v[126:127], -v[106:107]
	v_fma_f64 v[158:159], v[6:7], v[112:113], v[160:161]
	v_add_f64 v[74:75], v[74:75], v[126:127]
	v_fma_f64 v[110:111], v[116:117], v[120:121], -v[118:119]
	v_add_f64 v[6:7], v[28:29], v[154:155]
	v_fma_f64 v[84:85], v[112:113], v[84:85], -v[114:115]
	v_fma_f64 v[116:117], v[8:9], v[102:103], v[16:17]
	v_fma_f64 v[104:105], v[12:13], v[108:109], v[104:105]
	v_add_f64 v[8:9], v[130:131], -v[122:123]
	v_fma_f64 v[12:13], v[148:149], s[6:7], v[0:1]
	v_fma_f64 v[0:1], v[148:149], s[10:11], v[0:1]
	v_add_f64 v[112:113], v[142:143], -v[158:159]
	s_waitcnt lgkmcnt(0)
	v_fma_f64 v[6:7], v[6:7], -0.5, v[144:145]
	v_add_f64 v[16:17], v[106:107], v[74:75]
	v_add_f64 v[74:75], v[110:111], -v[28:29]
	v_add_f64 v[102:103], v[84:85], -v[154:155]
	v_add_f64 v[78:79], v[78:79], v[8:9]
	v_add_f64 v[108:109], v[116:117], -v[104:105]
	v_fma_f64 v[0:1], v[146:147], s[2:3], v[0:1]
	v_fma_f64 v[76:77], v[148:149], s[2:3], v[76:77]
	;; [unrolled: 1-line block ×3, first 2 shown]
	v_add_f64 v[118:119], v[16:17], v[122:123]
	v_fma_f64 v[8:9], v[146:147], s[4:5], v[12:13]
	v_add_f64 v[74:75], v[74:75], v[102:103]
	v_add_f64 v[102:103], v[110:111], v[84:85]
	v_fma_f64 v[6:7], v[112:113], s[10:11], v[6:7]
	v_fma_f64 v[16:17], v[78:79], s[0:1], v[0:1]
	v_add_f64 v[0:1], v[116:117], v[104:105]
	v_fma_f64 v[106:107], v[108:109], s[2:3], v[106:107]
	v_fma_f64 v[12:13], v[98:99], s[0:1], v[76:77]
	v_add_f64 v[120:121], v[110:111], -v[84:85]
	v_fma_f64 v[8:9], v[78:79], s[0:1], v[8:9]
	v_fma_f64 v[98:99], v[102:103], -0.5, v[144:145]
	v_add_f64 v[102:103], v[28:29], v[144:145]
	v_add_f64 v[78:79], v[118:119], v[130:131]
	v_fma_f64 v[0:1], v[0:1], -0.5, v[72:73]
	v_fma_f64 v[76:77], v[74:75], s[0:1], v[106:107]
	v_fma_f64 v[6:7], v[108:109], s[4:5], v[6:7]
	v_add_f64 v[106:107], v[28:29], -v[110:111]
	v_add_f64 v[118:119], v[154:155], -v[84:85]
	v_fma_f64 v[122:123], v[108:109], s[10:11], v[98:99]
	v_fma_f64 v[98:99], v[108:109], s[6:7], v[98:99]
	v_add_f64 v[108:109], v[142:143], -v[116:117]
	v_add_f64 v[124:125], v[158:159], -v[104:105]
	;; [unrolled: 1-line block ×3, first 2 shown]
	v_fma_f64 v[126:127], v[120:121], s[10:11], v[0:1]
	v_add_f64 v[102:103], v[110:111], v[102:103]
	v_add_f64 v[110:111], v[142:143], v[158:159]
	v_fma_f64 v[6:7], v[74:75], s[0:1], v[6:7]
	v_add_f64 v[74:75], v[106:107], v[118:119]
	v_fma_f64 v[106:107], v[112:113], s[2:3], v[122:123]
	v_fma_f64 v[98:99], v[112:113], s[4:5], v[98:99]
	v_add_f64 v[108:109], v[108:109], v[124:125]
	v_fma_f64 v[112:113], v[28:29], s[4:5], v[126:127]
	v_add_f64 v[118:119], v[116:117], -v[142:143]
	v_add_f64 v[122:123], v[104:105], -v[158:159]
	v_fma_f64 v[110:111], v[110:111], -0.5, v[72:73]
	v_fma_f64 v[0:1], v[120:121], s[6:7], v[0:1]
	s_waitcnt vmcnt(3)
	v_mul_f64 v[124:125], v[70:71], v[88:89]
	v_add_f64 v[102:103], v[84:85], v[102:103]
	v_fma_f64 v[84:85], v[74:75], s[0:1], v[106:107]
	v_fma_f64 v[98:99], v[74:75], s[0:1], v[98:99]
	;; [unrolled: 1-line block ×3, first 2 shown]
	v_add_f64 v[112:113], v[118:119], v[122:123]
	s_waitcnt vmcnt(2)
	v_mul_f64 v[118:119], v[2:3], v[92:93]
	v_fma_f64 v[106:107], v[28:29], s[6:7], v[110:111]
	v_fma_f64 v[0:1], v[28:29], s[2:3], v[0:1]
	s_waitcnt vmcnt(0)
	v_mul_f64 v[122:123], v[68:69], v[136:137]
	v_fma_f64 v[28:29], v[28:29], s[10:11], v[110:111]
	v_fma_f64 v[110:111], v[86:87], v[140:141], -v[124:125]
	v_mul_f64 v[124:125], v[4:5], v[96:97]
	v_mul_f64 v[126:127], v[138:139], v[136:137]
	;; [unrolled: 1-line block ×3, first 2 shown]
	v_fma_f64 v[118:119], v[90:91], v[100:101], -v[118:119]
	v_add_f64 v[72:73], v[72:73], v[116:117]
	v_fma_f64 v[116:117], v[134:135], v[138:139], -v[122:123]
	v_mul_f64 v[88:89], v[140:141], v[88:89]
	v_mul_f64 v[92:93], v[100:101], v[92:93]
	v_fma_f64 v[122:123], v[94:95], v[82:83], -v[124:125]
	v_fma_f64 v[124:125], v[68:69], v[134:135], v[126:127]
	v_fma_f64 v[94:95], v[4:5], v[94:95], v[96:97]
	v_add_f64 v[4:5], v[110:111], v[118:119]
	ds_read_b64 v[114:115], v157
	v_fma_f64 v[28:29], v[120:121], s[2:3], v[28:29]
	v_fma_f64 v[70:71], v[70:71], v[86:87], v[88:89]
	;; [unrolled: 1-line block ×3, first 2 shown]
	v_add_f64 v[2:3], v[116:117], v[122:123]
	v_add_f64 v[68:69], v[142:143], v[72:73]
	v_add_f64 v[86:87], v[124:125], -v[94:95]
	s_waitcnt lgkmcnt(0)
	v_fma_f64 v[88:89], v[4:5], -0.5, v[114:115]
	v_fma_f64 v[106:107], v[120:121], s[4:5], v[106:107]
	v_add_f64 v[72:73], v[116:117], -v[110:111]
	v_add_f64 v[92:93], v[122:123], -v[118:119]
	v_fma_f64 v[4:5], v[108:109], s[0:1], v[0:1]
	v_add_f64 v[0:1], v[70:71], -v[90:91]
	v_fma_f64 v[2:3], v[2:3], -0.5, v[114:115]
	v_fma_f64 v[96:97], v[112:113], s[0:1], v[28:29]
	v_add_f64 v[28:29], v[68:69], v[158:159]
	v_fma_f64 v[68:69], v[86:87], s[6:7], v[88:89]
	v_fma_f64 v[88:89], v[86:87], s[10:11], v[88:89]
	;; [unrolled: 1-line block ×3, first 2 shown]
	v_add_f64 v[72:73], v[72:73], v[92:93]
	v_add_f64 v[92:93], v[110:111], -v[116:117]
	v_add_f64 v[106:107], v[118:119], -v[122:123]
	v_fma_f64 v[108:109], v[0:1], s[10:11], v[2:3]
	v_fma_f64 v[2:3], v[0:1], s[6:7], v[2:3]
	v_add_f64 v[112:113], v[110:111], v[114:115]
	v_fma_f64 v[68:69], v[0:1], s[2:3], v[68:69]
	v_add_f64 v[100:101], v[28:29], v[104:105]
	;; [unrolled: 2-line block ×3, first 2 shown]
	v_add_f64 v[88:89], v[92:93], v[106:107]
	v_fma_f64 v[92:93], v[86:87], s[2:3], v[108:109]
	v_fma_f64 v[86:87], v[86:87], s[4:5], v[2:3]
	v_add_f64 v[104:105], v[116:117], v[112:113]
	v_add_f64 v[106:107], v[124:125], v[94:95]
	v_fma_f64 v[2:3], v[72:73], s[0:1], v[68:69]
	v_fma_f64 v[68:69], v[72:73], s[0:1], v[0:1]
	v_fma_f64 v[0:1], v[28:29], -0.5, v[66:67]
	v_add_f64 v[28:29], v[116:117], -v[122:123]
	v_fma_f64 v[72:73], v[88:89], s[0:1], v[92:93]
	v_fma_f64 v[88:89], v[88:89], s[0:1], v[86:87]
	v_add_f64 v[86:87], v[122:123], v[104:105]
	v_add_f64 v[104:105], v[110:111], -v[118:119]
	v_fma_f64 v[92:93], v[106:107], -0.5, v[66:67]
	v_add_f64 v[66:67], v[66:67], v[70:71]
	v_add_f64 v[106:107], v[124:125], -v[70:71]
	v_add_f64 v[108:109], v[94:95], -v[90:91]
	v_fma_f64 v[110:111], v[28:29], s[10:11], v[0:1]
	v_fma_f64 v[0:1], v[28:29], s[6:7], v[0:1]
	v_add_f64 v[70:71], v[70:71], -v[124:125]
	v_add_f64 v[112:113], v[90:91], -v[94:95]
	v_fma_f64 v[114:115], v[104:105], s[6:7], v[92:93]
	v_fma_f64 v[116:117], v[104:105], s[10:11], v[92:93]
	v_add_f64 v[66:67], v[124:125], v[66:67]
	v_add_f64 v[92:93], v[118:119], v[86:87]
	;; [unrolled: 1-line block ×3, first 2 shown]
	v_fma_f64 v[106:107], v[104:105], s[4:5], v[110:111]
	v_fma_f64 v[104:105], v[104:105], s[2:3], v[0:1]
	v_add_f64 v[108:109], v[70:71], v[112:113]
	v_fma_f64 v[70:71], v[28:29], s[4:5], v[114:115]
	v_fma_f64 v[28:29], v[28:29], s[2:3], v[116:117]
	v_mad_u64_u32 v[110:111], s[2:3], s12, v150, 0
	v_add_f64 v[94:95], v[66:67], v[94:95]
	v_fma_f64 v[0:1], v[86:87], s[0:1], v[106:107]
	v_fma_f64 v[66:67], v[86:87], s[0:1], v[104:105]
	v_mov_b32_e32 v86, v111
	v_mad_u64_u32 v[104:105], s[2:3], s13, v150, v[86:87]
	v_fma_f64 v[70:71], v[108:109], s[0:1], v[70:71]
	v_fma_f64 v[86:87], v[108:109], s[0:1], v[28:29]
	v_mov_b32_e32 v111, v104
	v_add_u32_e32 v104, 0x118, v150
	v_add_f64 v[90:91], v[94:95], v[90:91]
	v_mad_u64_u32 v[94:95], s[0:1], s12, v104, 0
	v_mov_b32_e32 v28, s15
	v_add_co_u32_e32 v107, vcc, s14, v132
	v_mad_u64_u32 v[104:105], s[0:1], s13, v104, v[95:96]
	v_addc_co_u32_e32 v108, vcc, v28, v133, vcc
	v_lshlrev_b64 v[28:29], 4, v[110:111]
	v_add_u32_e32 v109, 0x230, v150
	v_add_co_u32_e32 v28, vcc, v107, v28
	v_addc_co_u32_e32 v29, vcc, v108, v29, vcc
	v_mad_u64_u32 v[105:106], s[0:1], s12, v109, 0
	v_mov_b32_e32 v95, v104
	global_store_dwordx4 v[28:29], v[90:93], off
	v_lshlrev_b64 v[28:29], 4, v[94:95]
	v_mov_b32_e32 v90, v106
	v_add_co_u32_e32 v28, vcc, v107, v28
	v_addc_co_u32_e32 v29, vcc, v108, v29, vcc
	v_mad_u64_u32 v[90:91], s[0:1], s13, v109, v[90:91]
	global_store_dwordx4 v[28:29], v[86:89], off
	v_add_f64 v[102:103], v[154:155], v[102:103]
	v_add_u32_e32 v88, 0x348, v150
	v_mad_u64_u32 v[86:87], s[0:1], s12, v88, 0
	v_mov_b32_e32 v106, v90
	v_lshlrev_b64 v[28:29], 4, v[105:106]
	v_mad_u64_u32 v[87:88], s[0:1], s13, v88, v[87:88]
	v_add_co_u32_e32 v28, vcc, v107, v28
	v_addc_co_u32_e32 v29, vcc, v108, v29, vcc
	v_add_u32_e32 v90, 0x460, v150
	v_mad_u64_u32 v[88:89], s[0:1], s12, v90, 0
	global_store_dwordx4 v[28:29], v[66:69], off
	v_lshlrev_b64 v[28:29], 4, v[86:87]
	v_mov_b32_e32 v66, v89
	v_add_co_u32_e32 v28, vcc, v107, v28
	v_addc_co_u32_e32 v29, vcc, v108, v29, vcc
	global_store_dwordx4 v[28:29], v[0:3], off
	v_mad_u64_u32 v[66:67], s[0:1], s13, v90, v[66:67]
	v_mad_u64_u32 v[2:3], s[2:3], s12, v151, 0
	v_mov_b32_e32 v89, v66
	v_lshlrev_b64 v[0:1], 4, v[88:89]
	v_mad_u64_u32 v[28:29], s[2:3], s13, v151, v[3:4]
	v_add_u32_e32 v29, 0x150, v150
	v_mad_u64_u32 v[66:67], s[2:3], s12, v29, 0
	v_add_co_u32_e32 v0, vcc, v107, v0
	v_addc_co_u32_e32 v1, vcc, v108, v1, vcc
	v_mov_b32_e32 v3, v28
	global_store_dwordx4 v[0:1], v[70:73], off
	v_lshlrev_b64 v[0:1], 4, v[2:3]
	v_mov_b32_e32 v2, v67
	v_mad_u64_u32 v[2:3], s[2:3], s13, v29, v[2:3]
	v_add_u32_e32 v28, 0x268, v150
	v_add_co_u32_e32 v0, vcc, v107, v0
	v_mov_b32_e32 v67, v2
	v_mad_u64_u32 v[2:3], s[2:3], s12, v28, 0
	v_addc_co_u32_e32 v1, vcc, v108, v1, vcc
	v_mad_u64_u32 v[28:29], s[2:3], s13, v28, v[3:4]
	v_or_b32_e32 v29, 0x380, v150
	global_store_dwordx4 v[0:1], v[100:103], off
	v_lshlrev_b64 v[0:1], 4, v[66:67]
	v_mad_u64_u32 v[66:67], s[2:3], s12, v29, 0
	v_add_co_u32_e32 v0, vcc, v107, v0
	v_addc_co_u32_e32 v1, vcc, v108, v1, vcc
	v_mov_b32_e32 v3, v28
	global_store_dwordx4 v[0:1], v[96:99], off
	v_lshlrev_b64 v[0:1], 4, v[2:3]
	v_mov_b32_e32 v2, v67
	v_mad_u64_u32 v[2:3], s[2:3], s13, v29, v[2:3]
	v_add_co_u32_e32 v0, vcc, v107, v0
	v_addc_co_u32_e32 v1, vcc, v108, v1, vcc
	global_store_dwordx4 v[0:1], v[4:7], off
	v_mov_b32_e32 v67, v2
	v_add_u32_e32 v4, 0x498, v150
	v_mad_u64_u32 v[2:3], s[2:3], s12, v4, 0
	v_add_u32_e32 v6, 0x70, v150
	v_lshlrev_b64 v[0:1], 4, v[66:67]
	v_mad_u64_u32 v[3:4], s[2:3], s13, v4, v[3:4]
	v_mad_u64_u32 v[4:5], s[2:3], s12, v6, 0
	v_add_co_u32_e32 v0, vcc, v107, v0
	v_addc_co_u32_e32 v1, vcc, v108, v1, vcc
	global_store_dwordx4 v[0:1], v[74:77], off
	v_lshlrev_b64 v[0:1], 4, v[2:3]
	v_mov_b32_e32 v2, v5
	v_mad_u64_u32 v[2:3], s[2:3], s13, v6, v[2:3]
	v_add_co_u32_e32 v0, vcc, v107, v0
	v_addc_co_u32_e32 v1, vcc, v108, v1, vcc
	v_mov_b32_e32 v5, v2
	global_store_dwordx4 v[0:1], v[82:85], off
	v_lshlrev_b64 v[0:1], 4, v[4:5]
	v_add_u32_e32 v4, 0x188, v150
	v_mad_u64_u32 v[2:3], s[2:3], s12, v4, 0
	v_add_co_u32_e32 v0, vcc, v107, v0
	v_mad_u64_u32 v[3:4], s[2:3], s13, v4, v[3:4]
	v_mad_u64_u32 v[4:5], s[2:3], s12, v153, 0
	v_addc_co_u32_e32 v1, vcc, v108, v1, vcc
	global_store_dwordx4 v[0:1], v[78:81], off
	v_lshlrev_b64 v[0:1], 4, v[2:3]
	v_mov_b32_e32 v2, v5
	v_mad_u64_u32 v[2:3], s[2:3], s13, v153, v[2:3]
	v_add_co_u32_e32 v0, vcc, v107, v0
	v_addc_co_u32_e32 v1, vcc, v108, v1, vcc
	v_mov_b32_e32 v5, v2
	global_store_dwordx4 v[0:1], v[16:19], off
	v_lshlrev_b64 v[0:1], 4, v[4:5]
	v_add_u32_e32 v4, 0x3b8, v150
	v_mad_u64_u32 v[2:3], s[2:3], s12, v4, 0
	v_add_u32_e32 v6, 0x4d0, v150
	v_add_co_u32_e32 v0, vcc, v107, v0
	v_mad_u64_u32 v[3:4], s[2:3], s13, v4, v[3:4]
	v_mad_u64_u32 v[4:5], s[2:3], s12, v6, 0
	v_addc_co_u32_e32 v1, vcc, v108, v1, vcc
	global_store_dwordx4 v[0:1], v[12:15], off
	v_lshlrev_b64 v[0:1], 4, v[2:3]
	v_mov_b32_e32 v2, v5
	v_mad_u64_u32 v[2:3], s[2:3], s13, v6, v[2:3]
	v_add_co_u32_e32 v0, vcc, v107, v0
	v_addc_co_u32_e32 v1, vcc, v108, v1, vcc
	v_mov_b32_e32 v5, v2
	global_store_dwordx4 v[0:1], v[62:65], off
	v_lshlrev_b64 v[0:1], 4, v[4:5]
	v_add_u32_e32 v4, 0xa8, v150
	v_mad_u64_u32 v[2:3], s[2:3], s12, v4, 0
	v_or_b32_e32 v6, 0x1c0, v150
	v_add_co_u32_e32 v0, vcc, v107, v0
	v_mad_u64_u32 v[3:4], s[2:3], s13, v4, v[3:4]
	v_mad_u64_u32 v[4:5], s[2:3], s12, v6, 0
	v_addc_co_u32_e32 v1, vcc, v108, v1, vcc
	global_store_dwordx4 v[0:1], v[8:11], off
	v_lshlrev_b64 v[0:1], 4, v[2:3]
	v_mov_b32_e32 v2, v5
	v_mad_u64_u32 v[2:3], s[2:3], s13, v6, v[2:3]
	v_add_co_u32_e32 v0, vcc, v107, v0
	v_addc_co_u32_e32 v1, vcc, v108, v1, vcc
	v_mov_b32_e32 v5, v2
	global_store_dwordx4 v[0:1], v[58:61], off
	v_lshlrev_b64 v[0:1], 4, v[4:5]
	v_add_u32_e32 v4, 0x2d8, v150
	v_mad_u64_u32 v[2:3], s[2:3], s12, v4, 0
	v_add_u32_e32 v6, 0x3f0, v150
	v_add_co_u32_e32 v0, vcc, v107, v0
	v_mad_u64_u32 v[3:4], s[2:3], s13, v4, v[3:4]
	v_mad_u64_u32 v[4:5], s[2:3], s12, v6, 0
	v_addc_co_u32_e32 v1, vcc, v108, v1, vcc
	global_store_dwordx4 v[0:1], v[54:57], off
	v_lshlrev_b64 v[0:1], 4, v[2:3]
	v_mov_b32_e32 v2, v5
	v_mad_u64_u32 v[2:3], s[2:3], s13, v6, v[2:3]
	v_add_co_u32_e32 v0, vcc, v107, v0
	v_addc_co_u32_e32 v1, vcc, v108, v1, vcc
	v_mov_b32_e32 v5, v2
	global_store_dwordx4 v[0:1], v[50:53], off
	v_lshlrev_b64 v[0:1], 4, v[4:5]
	v_add_u32_e32 v4, 0x508, v150
	v_add_u32_e32 v5, 0xe0, v150
	v_mad_u64_u32 v[2:3], s[2:3], s12, v4, 0
	v_lshrrev_b32_e32 v6, 3, v5
	s_mov_b32 s1, 0xea0ea0f
	v_mul_hi_u32 v6, v6, s1
	v_mad_u64_u32 v[3:4], s[2:3], s13, v4, v[3:4]
	s_movk_i32 s0, 0x460
	v_lshrrev_b32_e32 v4, 1, v6
	v_mad_u32_u24 v6, v4, s0, v5
	v_mad_u64_u32 v[4:5], s[0:1], s12, v6, 0
	v_add_co_u32_e32 v0, vcc, v107, v0
	v_addc_co_u32_e32 v1, vcc, v108, v1, vcc
	global_store_dwordx4 v[0:1], v[46:49], off
	v_lshlrev_b64 v[0:1], 4, v[2:3]
	v_mov_b32_e32 v2, v5
	v_mad_u64_u32 v[2:3], s[0:1], s13, v6, v[2:3]
	v_add_co_u32_e32 v0, vcc, v107, v0
	v_addc_co_u32_e32 v1, vcc, v108, v1, vcc
	v_mov_b32_e32 v5, v2
	global_store_dwordx4 v[0:1], v[20:23], off
	v_lshlrev_b64 v[0:1], 4, v[4:5]
	v_add_u32_e32 v4, 0x118, v6
	v_mad_u64_u32 v[2:3], s[0:1], s12, v4, 0
	v_add_u32_e32 v7, 0x230, v6
	v_add_co_u32_e32 v0, vcc, v107, v0
	v_mad_u64_u32 v[3:4], s[0:1], s13, v4, v[3:4]
	v_mad_u64_u32 v[4:5], s[0:1], s12, v7, 0
	v_addc_co_u32_e32 v1, vcc, v108, v1, vcc
	global_store_dwordx4 v[0:1], v[42:45], off
	v_lshlrev_b64 v[0:1], 4, v[2:3]
	v_mov_b32_e32 v2, v5
	v_mad_u64_u32 v[2:3], s[0:1], s13, v7, v[2:3]
	v_add_co_u32_e32 v0, vcc, v107, v0
	v_addc_co_u32_e32 v1, vcc, v108, v1, vcc
	v_mov_b32_e32 v5, v2
	global_store_dwordx4 v[0:1], v[38:41], off
	v_lshlrev_b64 v[0:1], 4, v[4:5]
	v_add_u32_e32 v4, 0x348, v6
	v_mad_u64_u32 v[2:3], s[0:1], s12, v4, 0
	v_add_u32_e32 v6, 0x460, v6
	v_add_co_u32_e32 v0, vcc, v107, v0
	v_mad_u64_u32 v[3:4], s[0:1], s13, v4, v[3:4]
	v_mad_u64_u32 v[4:5], s[0:1], s12, v6, 0
	v_addc_co_u32_e32 v1, vcc, v108, v1, vcc
	global_store_dwordx4 v[0:1], v[34:37], off
	v_lshlrev_b64 v[0:1], 4, v[2:3]
	v_mov_b32_e32 v2, v5
	v_mad_u64_u32 v[2:3], s[0:1], s13, v6, v[2:3]
	v_add_co_u32_e32 v0, vcc, v107, v0
	v_addc_co_u32_e32 v1, vcc, v108, v1, vcc
	v_mov_b32_e32 v5, v2
	global_store_dwordx4 v[0:1], v[30:33], off
	v_lshlrev_b64 v[0:1], 4, v[4:5]
	v_add_co_u32_e32 v0, vcc, v107, v0
	v_addc_co_u32_e32 v1, vcc, v108, v1, vcc
	global_store_dwordx4 v[0:1], v[24:27], off
.LBB0_45:
	s_endpgm
	.section	.rodata,"a",@progbits
	.p2align	6, 0x0
	.amdhsa_kernel fft_rtc_back_len1400_factors_2_2_2_5_7_5_wgs_56_tpt_56_halfLds_dp_ip_CI_sbrr_dirReg
		.amdhsa_group_segment_fixed_size 0
		.amdhsa_private_segment_fixed_size 0
		.amdhsa_kernarg_size 88
		.amdhsa_user_sgpr_count 6
		.amdhsa_user_sgpr_private_segment_buffer 1
		.amdhsa_user_sgpr_dispatch_ptr 0
		.amdhsa_user_sgpr_queue_ptr 0
		.amdhsa_user_sgpr_kernarg_segment_ptr 1
		.amdhsa_user_sgpr_dispatch_id 0
		.amdhsa_user_sgpr_flat_scratch_init 0
		.amdhsa_user_sgpr_private_segment_size 0
		.amdhsa_uses_dynamic_stack 0
		.amdhsa_system_sgpr_private_segment_wavefront_offset 0
		.amdhsa_system_sgpr_workgroup_id_x 1
		.amdhsa_system_sgpr_workgroup_id_y 0
		.amdhsa_system_sgpr_workgroup_id_z 0
		.amdhsa_system_sgpr_workgroup_info 0
		.amdhsa_system_vgpr_workitem_id 0
		.amdhsa_next_free_vgpr 256
		.amdhsa_next_free_sgpr 30
		.amdhsa_reserve_vcc 1
		.amdhsa_reserve_flat_scratch 0
		.amdhsa_float_round_mode_32 0
		.amdhsa_float_round_mode_16_64 0
		.amdhsa_float_denorm_mode_32 3
		.amdhsa_float_denorm_mode_16_64 3
		.amdhsa_dx10_clamp 1
		.amdhsa_ieee_mode 1
		.amdhsa_fp16_overflow 0
		.amdhsa_exception_fp_ieee_invalid_op 0
		.amdhsa_exception_fp_denorm_src 0
		.amdhsa_exception_fp_ieee_div_zero 0
		.amdhsa_exception_fp_ieee_overflow 0
		.amdhsa_exception_fp_ieee_underflow 0
		.amdhsa_exception_fp_ieee_inexact 0
		.amdhsa_exception_int_div_zero 0
	.end_amdhsa_kernel
	.text
.Lfunc_end0:
	.size	fft_rtc_back_len1400_factors_2_2_2_5_7_5_wgs_56_tpt_56_halfLds_dp_ip_CI_sbrr_dirReg, .Lfunc_end0-fft_rtc_back_len1400_factors_2_2_2_5_7_5_wgs_56_tpt_56_halfLds_dp_ip_CI_sbrr_dirReg
                                        ; -- End function
	.section	.AMDGPU.csdata,"",@progbits
; Kernel info:
; codeLenInByte = 21140
; NumSgprs: 34
; NumVgprs: 256
; ScratchSize: 0
; MemoryBound: 1
; FloatMode: 240
; IeeeMode: 1
; LDSByteSize: 0 bytes/workgroup (compile time only)
; SGPRBlocks: 4
; VGPRBlocks: 63
; NumSGPRsForWavesPerEU: 34
; NumVGPRsForWavesPerEU: 256
; Occupancy: 1
; WaveLimiterHint : 1
; COMPUTE_PGM_RSRC2:SCRATCH_EN: 0
; COMPUTE_PGM_RSRC2:USER_SGPR: 6
; COMPUTE_PGM_RSRC2:TRAP_HANDLER: 0
; COMPUTE_PGM_RSRC2:TGID_X_EN: 1
; COMPUTE_PGM_RSRC2:TGID_Y_EN: 0
; COMPUTE_PGM_RSRC2:TGID_Z_EN: 0
; COMPUTE_PGM_RSRC2:TIDIG_COMP_CNT: 0
	.type	__hip_cuid_4f274eeedd1fc943,@object ; @__hip_cuid_4f274eeedd1fc943
	.section	.bss,"aw",@nobits
	.globl	__hip_cuid_4f274eeedd1fc943
__hip_cuid_4f274eeedd1fc943:
	.byte	0                               ; 0x0
	.size	__hip_cuid_4f274eeedd1fc943, 1

	.ident	"AMD clang version 19.0.0git (https://github.com/RadeonOpenCompute/llvm-project roc-6.4.0 25133 c7fe45cf4b819c5991fe208aaa96edf142730f1d)"
	.section	".note.GNU-stack","",@progbits
	.addrsig
	.addrsig_sym __hip_cuid_4f274eeedd1fc943
	.amdgpu_metadata
---
amdhsa.kernels:
  - .args:
      - .actual_access:  read_only
        .address_space:  global
        .offset:         0
        .size:           8
        .value_kind:     global_buffer
      - .offset:         8
        .size:           8
        .value_kind:     by_value
      - .actual_access:  read_only
        .address_space:  global
        .offset:         16
        .size:           8
        .value_kind:     global_buffer
      - .actual_access:  read_only
        .address_space:  global
        .offset:         24
        .size:           8
        .value_kind:     global_buffer
      - .offset:         32
        .size:           8
        .value_kind:     by_value
      - .actual_access:  read_only
        .address_space:  global
        .offset:         40
        .size:           8
        .value_kind:     global_buffer
      - .actual_access:  read_only
        .address_space:  global
        .offset:         48
        .size:           8
        .value_kind:     global_buffer
      - .offset:         56
        .size:           4
        .value_kind:     by_value
      - .actual_access:  read_only
        .address_space:  global
        .offset:         64
        .size:           8
        .value_kind:     global_buffer
      - .actual_access:  read_only
        .address_space:  global
        .offset:         72
        .size:           8
        .value_kind:     global_buffer
      - .address_space:  global
        .offset:         80
        .size:           8
        .value_kind:     global_buffer
    .group_segment_fixed_size: 0
    .kernarg_segment_align: 8
    .kernarg_segment_size: 88
    .language:       OpenCL C
    .language_version:
      - 2
      - 0
    .max_flat_workgroup_size: 56
    .name:           fft_rtc_back_len1400_factors_2_2_2_5_7_5_wgs_56_tpt_56_halfLds_dp_ip_CI_sbrr_dirReg
    .private_segment_fixed_size: 0
    .sgpr_count:     34
    .sgpr_spill_count: 0
    .symbol:         fft_rtc_back_len1400_factors_2_2_2_5_7_5_wgs_56_tpt_56_halfLds_dp_ip_CI_sbrr_dirReg.kd
    .uniform_work_group_size: 1
    .uses_dynamic_stack: false
    .vgpr_count:     256
    .vgpr_spill_count: 0
    .wavefront_size: 64
amdhsa.target:   amdgcn-amd-amdhsa--gfx906
amdhsa.version:
  - 1
  - 2
...

	.end_amdgpu_metadata
